;; amdgpu-corpus repo=ROCm/rocFFT kind=compiled arch=gfx1030 opt=O3
	.text
	.amdgcn_target "amdgcn-amd-amdhsa--gfx1030"
	.amdhsa_code_object_version 6
	.protected	fft_rtc_fwd_len1440_factors_10_16_3_3_wgs_90_tpt_90_halfLds_dp_op_CI_CI_unitstride_sbrr_R2C_dirReg ; -- Begin function fft_rtc_fwd_len1440_factors_10_16_3_3_wgs_90_tpt_90_halfLds_dp_op_CI_CI_unitstride_sbrr_R2C_dirReg
	.globl	fft_rtc_fwd_len1440_factors_10_16_3_3_wgs_90_tpt_90_halfLds_dp_op_CI_CI_unitstride_sbrr_R2C_dirReg
	.p2align	8
	.type	fft_rtc_fwd_len1440_factors_10_16_3_3_wgs_90_tpt_90_halfLds_dp_op_CI_CI_unitstride_sbrr_R2C_dirReg,@function
fft_rtc_fwd_len1440_factors_10_16_3_3_wgs_90_tpt_90_halfLds_dp_op_CI_CI_unitstride_sbrr_R2C_dirReg: ; @fft_rtc_fwd_len1440_factors_10_16_3_3_wgs_90_tpt_90_halfLds_dp_op_CI_CI_unitstride_sbrr_R2C_dirReg
; %bb.0:
	s_clause 0x2
	s_load_dwordx4 s[12:15], s[4:5], 0x0
	s_load_dwordx4 s[8:11], s[4:5], 0x58
	;; [unrolled: 1-line block ×3, first 2 shown]
	v_mul_u32_u24_e32 v1, 0x2d9, v0
	v_mov_b32_e32 v3, 0
	v_add_nc_u32_sdwa v5, s6, v1 dst_sel:DWORD dst_unused:UNUSED_PAD src0_sel:DWORD src1_sel:WORD_1
	v_mov_b32_e32 v1, 0
	v_mov_b32_e32 v6, v3
	v_mov_b32_e32 v2, 0
	s_waitcnt lgkmcnt(0)
	v_cmp_lt_u64_e64 s0, s[14:15], 2
	s_and_b32 vcc_lo, exec_lo, s0
	s_cbranch_vccnz .LBB0_8
; %bb.1:
	s_load_dwordx2 s[0:1], s[4:5], 0x10
	v_mov_b32_e32 v1, 0
	v_mov_b32_e32 v2, 0
	s_add_u32 s2, s18, 8
	s_addc_u32 s3, s19, 0
	s_add_u32 s6, s16, 8
	s_addc_u32 s7, s17, 0
	v_mov_b32_e32 v77, v2
	v_mov_b32_e32 v76, v1
	s_mov_b64 s[22:23], 1
	s_waitcnt lgkmcnt(0)
	s_add_u32 s20, s0, 8
	s_addc_u32 s21, s1, 0
.LBB0_2:                                ; =>This Inner Loop Header: Depth=1
	s_load_dwordx2 s[24:25], s[20:21], 0x0
                                        ; implicit-def: $vgpr80_vgpr81
	s_mov_b32 s0, exec_lo
	s_waitcnt lgkmcnt(0)
	v_or_b32_e32 v4, s25, v6
	v_cmpx_ne_u64_e32 0, v[3:4]
	s_xor_b32 s1, exec_lo, s0
	s_cbranch_execz .LBB0_4
; %bb.3:                                ;   in Loop: Header=BB0_2 Depth=1
	v_cvt_f32_u32_e32 v4, s24
	v_cvt_f32_u32_e32 v7, s25
	s_sub_u32 s0, 0, s24
	s_subb_u32 s26, 0, s25
	v_fmac_f32_e32 v4, 0x4f800000, v7
	v_rcp_f32_e32 v4, v4
	v_mul_f32_e32 v4, 0x5f7ffffc, v4
	v_mul_f32_e32 v7, 0x2f800000, v4
	v_trunc_f32_e32 v7, v7
	v_fmac_f32_e32 v4, 0xcf800000, v7
	v_cvt_u32_f32_e32 v7, v7
	v_cvt_u32_f32_e32 v4, v4
	v_mul_lo_u32 v8, s0, v7
	v_mul_hi_u32 v9, s0, v4
	v_mul_lo_u32 v10, s26, v4
	v_add_nc_u32_e32 v8, v9, v8
	v_mul_lo_u32 v9, s0, v4
	v_add_nc_u32_e32 v8, v8, v10
	v_mul_hi_u32 v10, v4, v9
	v_mul_lo_u32 v11, v4, v8
	v_mul_hi_u32 v12, v4, v8
	v_mul_hi_u32 v13, v7, v9
	v_mul_lo_u32 v9, v7, v9
	v_mul_hi_u32 v14, v7, v8
	v_mul_lo_u32 v8, v7, v8
	v_add_co_u32 v10, vcc_lo, v10, v11
	v_add_co_ci_u32_e32 v11, vcc_lo, 0, v12, vcc_lo
	v_add_co_u32 v9, vcc_lo, v10, v9
	v_add_co_ci_u32_e32 v9, vcc_lo, v11, v13, vcc_lo
	v_add_co_ci_u32_e32 v10, vcc_lo, 0, v14, vcc_lo
	v_add_co_u32 v8, vcc_lo, v9, v8
	v_add_co_ci_u32_e32 v9, vcc_lo, 0, v10, vcc_lo
	v_add_co_u32 v4, vcc_lo, v4, v8
	v_add_co_ci_u32_e32 v7, vcc_lo, v7, v9, vcc_lo
	v_mul_hi_u32 v8, s0, v4
	v_mul_lo_u32 v10, s26, v4
	v_mul_lo_u32 v9, s0, v7
	v_add_nc_u32_e32 v8, v8, v9
	v_mul_lo_u32 v9, s0, v4
	v_add_nc_u32_e32 v8, v8, v10
	v_mul_hi_u32 v10, v4, v9
	v_mul_lo_u32 v11, v4, v8
	v_mul_hi_u32 v12, v4, v8
	v_mul_hi_u32 v13, v7, v9
	v_mul_lo_u32 v9, v7, v9
	v_mul_hi_u32 v14, v7, v8
	v_mul_lo_u32 v8, v7, v8
	v_add_co_u32 v10, vcc_lo, v10, v11
	v_add_co_ci_u32_e32 v11, vcc_lo, 0, v12, vcc_lo
	v_add_co_u32 v9, vcc_lo, v10, v9
	v_add_co_ci_u32_e32 v9, vcc_lo, v11, v13, vcc_lo
	v_add_co_ci_u32_e32 v10, vcc_lo, 0, v14, vcc_lo
	v_add_co_u32 v8, vcc_lo, v9, v8
	v_add_co_ci_u32_e32 v9, vcc_lo, 0, v10, vcc_lo
	v_add_co_u32 v4, vcc_lo, v4, v8
	v_add_co_ci_u32_e32 v11, vcc_lo, v7, v9, vcc_lo
	v_mul_hi_u32 v13, v5, v4
	v_mad_u64_u32 v[9:10], null, v6, v4, 0
	v_mad_u64_u32 v[7:8], null, v5, v11, 0
	;; [unrolled: 1-line block ×3, first 2 shown]
	v_add_co_u32 v4, vcc_lo, v13, v7
	v_add_co_ci_u32_e32 v7, vcc_lo, 0, v8, vcc_lo
	v_add_co_u32 v4, vcc_lo, v4, v9
	v_add_co_ci_u32_e32 v4, vcc_lo, v7, v10, vcc_lo
	v_add_co_ci_u32_e32 v7, vcc_lo, 0, v12, vcc_lo
	v_add_co_u32 v4, vcc_lo, v4, v11
	v_add_co_ci_u32_e32 v9, vcc_lo, 0, v7, vcc_lo
	v_mul_lo_u32 v10, s25, v4
	v_mad_u64_u32 v[7:8], null, s24, v4, 0
	v_mul_lo_u32 v11, s24, v9
	v_sub_co_u32 v7, vcc_lo, v5, v7
	v_add3_u32 v8, v8, v11, v10
	v_sub_nc_u32_e32 v10, v6, v8
	v_subrev_co_ci_u32_e64 v10, s0, s25, v10, vcc_lo
	v_add_co_u32 v11, s0, v4, 2
	v_add_co_ci_u32_e64 v12, s0, 0, v9, s0
	v_sub_co_u32 v13, s0, v7, s24
	v_sub_co_ci_u32_e32 v8, vcc_lo, v6, v8, vcc_lo
	v_subrev_co_ci_u32_e64 v10, s0, 0, v10, s0
	v_cmp_le_u32_e32 vcc_lo, s24, v13
	v_cmp_eq_u32_e64 s0, s25, v8
	v_cndmask_b32_e64 v13, 0, -1, vcc_lo
	v_cmp_le_u32_e32 vcc_lo, s25, v10
	v_cndmask_b32_e64 v14, 0, -1, vcc_lo
	v_cmp_le_u32_e32 vcc_lo, s24, v7
	;; [unrolled: 2-line block ×3, first 2 shown]
	v_cndmask_b32_e64 v15, 0, -1, vcc_lo
	v_cmp_eq_u32_e32 vcc_lo, s25, v10
	v_cndmask_b32_e64 v7, v15, v7, s0
	v_cndmask_b32_e32 v10, v14, v13, vcc_lo
	v_add_co_u32 v13, vcc_lo, v4, 1
	v_add_co_ci_u32_e32 v14, vcc_lo, 0, v9, vcc_lo
	v_cmp_ne_u32_e32 vcc_lo, 0, v10
	v_cndmask_b32_e32 v8, v14, v12, vcc_lo
	v_cndmask_b32_e32 v10, v13, v11, vcc_lo
	v_cmp_ne_u32_e32 vcc_lo, 0, v7
	v_cndmask_b32_e32 v81, v9, v8, vcc_lo
	v_cndmask_b32_e32 v80, v4, v10, vcc_lo
.LBB0_4:                                ;   in Loop: Header=BB0_2 Depth=1
	s_andn2_saveexec_b32 s0, s1
	s_cbranch_execz .LBB0_6
; %bb.5:                                ;   in Loop: Header=BB0_2 Depth=1
	v_cvt_f32_u32_e32 v4, s24
	s_sub_i32 s1, 0, s24
	v_mov_b32_e32 v81, v3
	v_rcp_iflag_f32_e32 v4, v4
	v_mul_f32_e32 v4, 0x4f7ffffe, v4
	v_cvt_u32_f32_e32 v4, v4
	v_mul_lo_u32 v7, s1, v4
	v_mul_hi_u32 v7, v4, v7
	v_add_nc_u32_e32 v4, v4, v7
	v_mul_hi_u32 v4, v5, v4
	v_mul_lo_u32 v7, v4, s24
	v_add_nc_u32_e32 v8, 1, v4
	v_sub_nc_u32_e32 v7, v5, v7
	v_subrev_nc_u32_e32 v9, s24, v7
	v_cmp_le_u32_e32 vcc_lo, s24, v7
	v_cndmask_b32_e32 v7, v7, v9, vcc_lo
	v_cndmask_b32_e32 v4, v4, v8, vcc_lo
	v_cmp_le_u32_e32 vcc_lo, s24, v7
	v_add_nc_u32_e32 v8, 1, v4
	v_cndmask_b32_e32 v80, v4, v8, vcc_lo
.LBB0_6:                                ;   in Loop: Header=BB0_2 Depth=1
	s_or_b32 exec_lo, exec_lo, s0
	v_mul_lo_u32 v4, v81, s24
	v_mul_lo_u32 v9, v80, s25
	s_load_dwordx2 s[0:1], s[6:7], 0x0
	v_mad_u64_u32 v[7:8], null, v80, s24, 0
	s_load_dwordx2 s[24:25], s[2:3], 0x0
	s_add_u32 s22, s22, 1
	s_addc_u32 s23, s23, 0
	s_add_u32 s2, s2, 8
	s_addc_u32 s3, s3, 0
	s_add_u32 s6, s6, 8
	v_add3_u32 v4, v8, v9, v4
	v_sub_co_u32 v5, vcc_lo, v5, v7
	s_addc_u32 s7, s7, 0
	s_add_u32 s20, s20, 8
	v_sub_co_ci_u32_e32 v4, vcc_lo, v6, v4, vcc_lo
	s_addc_u32 s21, s21, 0
	s_waitcnt lgkmcnt(0)
	v_mul_lo_u32 v6, s0, v4
	v_mul_lo_u32 v7, s1, v5
	v_mad_u64_u32 v[1:2], null, s0, v5, v[1:2]
	v_mul_lo_u32 v4, s24, v4
	v_mul_lo_u32 v8, s25, v5
	v_mad_u64_u32 v[76:77], null, s24, v5, v[76:77]
	v_cmp_ge_u64_e64 s0, s[22:23], s[14:15]
	v_add3_u32 v2, v7, v2, v6
	v_add3_u32 v77, v8, v77, v4
	s_and_b32 vcc_lo, exec_lo, s0
	s_cbranch_vccnz .LBB0_9
; %bb.7:                                ;   in Loop: Header=BB0_2 Depth=1
	v_mov_b32_e32 v5, v80
	v_mov_b32_e32 v6, v81
	s_branch .LBB0_2
.LBB0_8:
	v_mov_b32_e32 v77, v2
	v_mov_b32_e32 v81, v6
	;; [unrolled: 1-line block ×4, first 2 shown]
.LBB0_9:
	s_load_dwordx2 s[0:1], s[4:5], 0x28
	v_mul_hi_u32 v3, 0x2d82d83, v0
	s_lshl_b64 s[4:5], s[14:15], 3
                                        ; implicit-def: $vgpr78
                                        ; implicit-def: $vgpr82
	s_add_u32 s2, s18, s4
	s_addc_u32 s3, s19, s5
	s_waitcnt lgkmcnt(0)
	v_cmp_gt_u64_e32 vcc_lo, s[0:1], v[80:81]
	v_cmp_le_u64_e64 s0, s[0:1], v[80:81]
	s_and_saveexec_b32 s1, s0
	s_xor_b32 s0, exec_lo, s1
; %bb.10:
	v_mul_u32_u24_e32 v1, 0x5a, v3
                                        ; implicit-def: $vgpr3
	v_sub_nc_u32_e32 v78, v0, v1
                                        ; implicit-def: $vgpr0
                                        ; implicit-def: $vgpr1_vgpr2
	v_add_nc_u32_e32 v82, 0x5a, v78
; %bb.11:
	s_andn2_saveexec_b32 s1, s0
	s_cbranch_execz .LBB0_13
; %bb.12:
	s_add_u32 s4, s16, s4
	s_addc_u32 s5, s17, s5
	v_lshlrev_b64 v[1:2], 4, v[1:2]
	s_load_dwordx2 s[4:5], s[4:5], 0x0
	s_waitcnt lgkmcnt(0)
	v_mul_lo_u32 v6, s5, v80
	v_mul_lo_u32 v7, s4, v81
	v_mad_u64_u32 v[4:5], null, s4, v80, 0
	v_add3_u32 v5, v5, v7, v6
	v_mul_u32_u24_e32 v6, 0x5a, v3
	v_lshlrev_b64 v[3:4], 4, v[4:5]
	v_sub_nc_u32_e32 v78, v0, v6
	v_lshlrev_b32_e32 v64, 4, v78
	v_add_co_u32 v0, s0, s8, v3
	v_add_co_ci_u32_e64 v3, s0, s9, v4, s0
	v_add_nc_u32_e32 v82, 0x5a, v78
	v_add_co_u32 v0, s0, v0, v1
	v_add_co_ci_u32_e64 v1, s0, v3, v2, s0
	v_add_co_u32 v8, s0, v0, v64
	v_add_co_ci_u32_e64 v9, s0, 0, v1, s0
	s_clause 0x1
	global_load_dwordx4 v[0:3], v[8:9], off
	global_load_dwordx4 v[4:7], v[8:9], off offset:1440
	v_add_co_u32 v10, s0, 0x800, v8
	v_add_co_ci_u32_e64 v11, s0, 0, v9, s0
	v_add_co_u32 v16, s0, 0x1000, v8
	v_add_co_ci_u32_e64 v17, s0, 0, v9, s0
	;; [unrolled: 2-line block ×10, first 2 shown]
	s_clause 0xd
	global_load_dwordx4 v[8:11], v[10:11], off offset:832
	global_load_dwordx4 v[12:15], v[16:17], off offset:224
	;; [unrolled: 1-line block ×14, first 2 shown]
	v_add_nc_u32_e32 v64, 0, v64
	s_waitcnt vmcnt(15)
	ds_write_b128 v64, v[0:3]
	s_waitcnt vmcnt(14)
	ds_write_b128 v64, v[4:7] offset:1440
	s_waitcnt vmcnt(13)
	ds_write_b128 v64, v[8:11] offset:2880
	;; [unrolled: 2-line block ×15, first 2 shown]
.LBB0_13:
	s_or_b32 exec_lo, exec_lo, s1
	v_lshl_add_u32 v119, v78, 4, 0
	s_load_dwordx2 s[2:3], s[2:3], 0x0
	s_waitcnt lgkmcnt(0)
	s_barrier
	buffer_gl0_inv
	ds_read_b128 v[0:3], v119 offset:11520
	ds_read_b128 v[4:7], v119 offset:16128
	;; [unrolled: 1-line block ×5, first 2 shown]
	ds_read_b128 v[60:63], v119
	ds_read_b128 v[64:67], v119 offset:20736
	ds_read_b128 v[68:71], v119 offset:9216
	;; [unrolled: 1-line block ×12, first 2 shown]
	s_mov_b32 s4, 0x134454ff
	s_mov_b32 s5, 0x3fee6f0e
	s_mov_b32 s6, 0x4755a5e
	s_mov_b32 s7, 0x3fe2cf23
	s_mov_b32 s9, 0xbfee6f0e
	s_mov_b32 s8, s4
	s_mov_b32 s16, 0x372fe950
	s_mov_b32 s17, 0x3fd3c6ef
	s_mov_b32 s15, 0xbfe2cf23
	s_mov_b32 s14, s6
	ds_read_b128 v[12:15], v119 offset:19872
	ds_read_b128 v[24:27], v119 offset:22176
	s_mov_b32 s18, 0x9b97f4a8
	s_mov_b32 s19, 0x3fe9e377
	v_mad_u32_u24 v79, 0x90, v78, v119
	s_waitcnt lgkmcnt(14)
	v_add_f64 v[93:94], v[60:61], v[56:57]
	v_add_f64 v[87:88], v[0:1], v[4:5]
	;; [unrolled: 1-line block ×5, first 2 shown]
	s_waitcnt lgkmcnt(13)
	v_add_f64 v[97:98], v[50:51], v[66:67]
	v_add_f64 v[101:102], v[48:49], v[64:65]
	;; [unrolled: 1-line block ×3, first 2 shown]
	v_add_f64 v[109:110], v[50:51], -v[66:67]
	s_waitcnt lgkmcnt(11)
	v_add_f64 v[111:112], v[70:71], v[74:75]
	s_waitcnt lgkmcnt(7)
	v_add_f64 v[115:116], v[58:59], v[85:86]
	v_add_f64 v[117:118], v[0:1], -v[4:5]
	v_add_f64 v[120:121], v[2:3], -v[6:7]
	;; [unrolled: 1-line block ×6, first 2 shown]
	v_add_f64 v[99:100], v[68:69], v[72:73]
	v_add_f64 v[113:114], v[56:57], v[83:84]
	v_add_f64 v[103:104], v[70:71], -v[74:75]
	v_add_f64 v[107:108], v[56:57], -v[68:69]
	s_waitcnt lgkmcnt(0)
	s_barrier
	v_fma_f64 v[87:88], v[87:88], -0.5, v[52:53]
	v_add_f64 v[0:1], v[89:90], v[0:1]
	v_add_f64 v[89:90], v[91:92], v[2:3]
	;; [unrolled: 1-line block ×4, first 2 shown]
	v_fma_f64 v[95:96], v[97:98], -0.5, v[54:55]
	v_add_f64 v[97:98], v[64:65], -v[4:5]
	v_fma_f64 v[52:53], v[101:102], -0.5, v[52:53]
	v_fma_f64 v[54:55], v[105:106], -0.5, v[54:55]
	v_add_f64 v[101:102], v[6:7], -v[66:67]
	v_fma_f64 v[105:106], v[111:112], -0.5, v[62:63]
	v_add_f64 v[2:3], v[50:51], -v[2:3]
	;; [unrolled: 2-line block ×3, first 2 shown]
	v_add_f64 v[50:51], v[68:69], -v[56:57]
	v_add_f64 v[68:69], v[68:69], -v[72:73]
	v_fma_f64 v[99:100], v[99:100], -0.5, v[60:61]
	v_fma_f64 v[60:61], v[113:114], -0.5, v[60:61]
	v_add_f64 v[113:114], v[58:59], -v[70:71]
	v_add_f64 v[70:71], v[70:71], -v[58:59]
	;; [unrolled: 1-line block ×4, first 2 shown]
	v_fma_f64 v[111:112], v[109:110], s[4:5], v[87:88]
	v_add_f64 v[0:1], v[0:1], v[4:5]
	v_add_f64 v[4:5], v[89:90], v[6:7]
	v_add_f64 v[6:7], v[66:67], -v[6:7]
	v_add_f64 v[89:90], v[91:92], v[72:73]
	v_add_f64 v[91:92], v[93:94], v[74:75]
	v_fma_f64 v[93:94], v[117:118], s[4:5], v[95:96]
	v_add_f64 v[97:98], v[122:123], v[97:98]
	v_fma_f64 v[122:123], v[120:121], s[8:9], v[52:53]
	;; [unrolled: 2-line block ×3, first 2 shown]
	v_fma_f64 v[52:53], v[120:121], s[4:5], v[52:53]
	v_fma_f64 v[95:96], v[117:118], s[8:9], v[95:96]
	v_add_f64 v[115:116], v[126:127], v[115:116]
	v_fma_f64 v[87:88], v[109:110], s[8:9], v[87:88]
	v_fma_f64 v[54:55], v[48:49], s[4:5], v[54:55]
	v_add_f64 v[126:127], v[83:84], -v[72:73]
	v_add_f64 v[72:73], v[72:73], -v[83:84]
	v_fma_f64 v[130:131], v[103:104], s[8:9], v[60:61]
	v_fma_f64 v[132:133], v[68:69], s[4:5], v[62:63]
	;; [unrolled: 1-line block ×5, first 2 shown]
	v_add_f64 v[64:65], v[0:1], v[64:65]
	v_add_f64 v[66:67], v[4:5], v[66:67]
	v_fma_f64 v[62:63], v[68:69], s[8:9], v[62:63]
	v_add_f64 v[89:90], v[89:90], v[83:84]
	v_add_f64 v[91:92], v[91:92], v[85:86]
	v_fma_f64 v[93:94], v[48:49], s[14:15], v[93:94]
	v_add_f64 v[83:84], v[85:86], -v[74:75]
	v_fma_f64 v[4:5], v[109:110], s[6:7], v[122:123]
	v_add_f64 v[122:123], v[2:3], v[6:7]
	v_fma_f64 v[124:125], v[117:118], s[14:15], v[124:125]
	v_fma_f64 v[52:53], v[109:110], s[14:15], v[52:53]
	;; [unrolled: 1-line block ×3, first 2 shown]
	v_add_f64 v[74:75], v[74:75], -v[85:86]
	v_add_f64 v[85:86], v[28:29], v[16:17]
	v_fma_f64 v[87:88], v[120:121], s[14:15], v[87:88]
	v_fma_f64 v[54:55], v[117:118], s[6:7], v[54:55]
	buffer_gl0_inv
	v_add_f64 v[95:96], v[42:43], v[26:27]
	v_add_f64 v[50:51], v[50:51], v[72:73]
	v_add_f64 v[120:121], v[30:31], -v[42:43]
	s_mov_b32 s1, exec_lo
	v_fma_f64 v[109:110], v[97:98], s[16:17], v[111:112]
	v_fma_f64 v[111:112], v[58:59], s[4:5], v[99:100]
	v_add_f64 v[0:1], v[89:90], v[64:65]
	v_add_f64 v[2:3], v[91:92], v[66:67]
	v_fma_f64 v[93:94], v[101:102], s[16:17], v[93:94]
	v_add_f64 v[6:7], v[91:92], -v[66:67]
	v_fma_f64 v[117:118], v[115:116], s[16:17], v[4:5]
	v_add_f64 v[4:5], v[89:90], -v[64:65]
	v_add_f64 v[89:90], v[40:41], v[24:25]
	v_fma_f64 v[91:92], v[122:123], s[16:17], v[124:125]
	v_fma_f64 v[66:67], v[58:59], s[8:9], v[99:100]
	;; [unrolled: 1-line block ×4, first 2 shown]
	v_add_f64 v[101:102], v[107:108], v[126:127]
	v_add_f64 v[83:84], v[113:114], v[83:84]
	;; [unrolled: 1-line block ×3, first 2 shown]
	v_fma_f64 v[74:75], v[56:57], s[4:5], v[105:106]
	v_fma_f64 v[107:108], v[68:69], s[14:15], v[128:129]
	;; [unrolled: 1-line block ×4, first 2 shown]
	v_mul_f64 v[64:65], v[109:110], s[18:19]
	v_fma_f64 v[105:106], v[103:104], s[6:7], v[111:112]
	v_mul_f64 v[109:110], v[109:110], s[14:15]
	v_fma_f64 v[111:112], v[58:59], s[6:7], v[130:131]
	v_fma_f64 v[58:59], v[58:59], s[14:15], v[60:61]
	;; [unrolled: 1-line block ×3, first 2 shown]
	v_mul_f64 v[115:116], v[93:94], s[4:5]
	v_fma_f64 v[97:98], v[122:123], s[16:17], v[54:55]
	v_mul_f64 v[87:88], v[117:118], s[8:9]
	ds_write_b128 v79, v[0:3]
	ds_write_b128 v79, v[4:7] offset:80
	v_fma_f64 v[54:55], v[85:86], -0.5, v[36:37]
	v_add_f64 v[85:86], v[30:31], v[18:19]
	v_fma_f64 v[6:7], v[103:104], s[14:15], v[66:67]
	v_add_f64 v[66:67], v[30:31], -v[18:19]
	v_fma_f64 v[62:63], v[89:90], -0.5, v[36:37]
	v_mul_f64 v[0:1], v[52:53], s[16:17]
	v_mul_f64 v[2:3], v[48:49], s[16:17]
	v_add_f64 v[99:100], v[28:29], -v[16:17]
	v_fma_f64 v[72:73], v[95:96], -0.5, v[38:39]
	v_fma_f64 v[95:96], v[83:84], s[16:17], v[107:108]
	v_fma_f64 v[68:69], v[68:69], s[6:7], v[74:75]
	v_add_f64 v[122:123], v[18:19], -v[26:27]
	v_fma_f64 v[4:5], v[91:92], s[6:7], v[64:65]
	v_add_f64 v[64:65], v[42:43], -v[26:27]
	v_fma_f64 v[89:90], v[91:92], s[18:19], v[109:110]
	v_fma_f64 v[91:92], v[101:102], s[16:17], v[105:106]
	;; [unrolled: 1-line block ×3, first 2 shown]
	v_mul_f64 v[74:75], v[60:61], s[18:19]
	v_fma_f64 v[103:104], v[117:118], s[16:17], v[115:116]
	v_fma_f64 v[109:110], v[70:71], s[16:17], v[113:114]
	;; [unrolled: 1-line block ×3, first 2 shown]
	v_mul_f64 v[93:94], v[97:98], s[18:19]
	v_fma_f64 v[111:112], v[50:51], s[16:17], v[58:59]
	v_add_f64 v[50:51], v[40:41], -v[28:29]
	v_add_f64 v[58:59], v[24:25], -v[16:17]
	;; [unrolled: 1-line block ×4, first 2 shown]
	v_fma_f64 v[105:106], v[85:86], -0.5, v[38:39]
	v_add_f64 v[117:118], v[40:41], -v[24:25]
	v_fma_f64 v[126:127], v[66:67], s[8:9], v[62:63]
	v_fma_f64 v[124:125], v[99:100], s[4:5], v[72:73]
	;; [unrolled: 1-line block ×3, first 2 shown]
	v_fma_f64 v[128:129], v[48:49], s[4:5], -v[0:1]
	v_fma_f64 v[52:53], v[52:53], s[8:9], -v[2:3]
	v_fma_f64 v[101:102], v[101:102], s[16:17], v[6:7]
	v_fma_f64 v[85:86], v[64:65], s[4:5], v[54:55]
	;; [unrolled: 1-line block ×3, first 2 shown]
	v_add_f64 v[0:1], v[91:92], v[4:5]
	v_add_f64 v[2:3], v[95:96], v[89:90]
	v_fma_f64 v[74:75], v[97:98], s[6:7], -v[74:75]
	v_add_f64 v[6:7], v[95:96], -v[89:90]
	v_add_f64 v[83:84], v[42:43], -v[30:31]
	v_add_f64 v[68:69], v[107:108], v[103:104]
	v_fma_f64 v[60:61], v[60:61], s[14:15], -v[93:94]
	v_add_f64 v[93:94], v[26:27], -v[18:19]
	v_add_f64 v[70:71], v[109:110], v[87:88]
	v_add_f64 v[48:49], v[50:51], v[58:59]
	;; [unrolled: 1-line block ×4, first 2 shown]
	v_add_f64 v[120:121], v[107:108], -v[103:104]
	v_fma_f64 v[95:96], v[117:118], s[8:9], v[105:106]
	v_fma_f64 v[115:116], v[64:65], s[6:7], v[126:127]
	;; [unrolled: 1-line block ×3, first 2 shown]
	v_add_f64 v[122:123], v[109:110], -v[87:88]
	v_add_f64 v[124:125], v[111:112], -v[128:129]
	v_add_f64 v[87:88], v[56:57], v[52:53]
	v_add_f64 v[126:127], v[56:57], -v[52:53]
	v_fma_f64 v[97:98], v[66:67], s[6:7], v[85:86]
	v_add_f64 v[85:86], v[111:112], v[128:129]
	v_add_f64 v[52:53], v[44:45], -v[32:33]
	v_add_f64 v[56:57], v[12:13], -v[20:21]
	v_add_f64 v[89:90], v[101:102], v[74:75]
	v_add_f64 v[103:104], v[32:33], -v[44:45]
	v_add_f64 v[107:108], v[20:21], -v[12:13]
	;; [unrolled: 1-line block ×4, first 2 shown]
	v_add_f64 v[83:84], v[83:84], v[93:94]
	v_add_f64 v[93:94], v[14:15], -v[22:23]
	v_add_f64 v[101:102], v[44:45], v[12:13]
	ds_write_b128 v79, v[0:3] offset:16
	v_add_f64 v[0:1], v[34:35], v[22:23]
	v_add_f64 v[2:3], v[46:47], v[14:15]
	v_fma_f64 v[74:75], v[99:100], s[14:15], v[95:96]
	v_fma_f64 v[132:133], v[50:51], s[16:17], v[115:116]
	v_add_f64 v[4:5], v[91:92], -v[4:5]
	v_add_f64 v[91:92], v[130:131], v[60:61]
	v_add_f64 v[130:131], v[130:131], -v[60:61]
	v_fma_f64 v[60:61], v[58:59], s[16:17], v[113:114]
	ds_write_b128 v79, v[68:71] offset:32
	ds_write_b128 v79, v[85:88] offset:48
	;; [unrolled: 1-line block ×3, first 2 shown]
	v_fma_f64 v[95:96], v[48:49], s[16:17], v[97:98]
	v_add_f64 v[97:98], v[32:33], v[20:21]
	v_add_f64 v[87:88], v[52:53], v[56:57]
	;; [unrolled: 1-line block ×4, first 2 shown]
	v_add_f64 v[52:53], v[34:35], -v[46:47]
	v_add_f64 v[56:57], v[22:23], -v[14:15]
	v_fma_f64 v[68:69], v[83:84], s[16:17], v[74:75]
	v_mul_f64 v[91:92], v[132:133], s[8:9]
	v_add_f64 v[109:110], v[46:47], -v[14:15]
	v_add_f64 v[111:112], v[34:35], -v[22:23]
	v_fma_f64 v[103:104], v[0:1], -0.5, v[10:11]
	v_add_f64 v[113:114], v[44:45], -v[12:13]
	v_fma_f64 v[107:108], v[2:3], -0.5, v[10:11]
	v_add_f64 v[115:116], v[32:33], -v[20:21]
	v_mul_f64 v[85:86], v[60:61], s[4:5]
	ds_write_b128 v79, v[4:7] offset:96
	ds_write_b128 v79, v[120:123] offset:112
	;; [unrolled: 1-line block ×4, first 2 shown]
	v_mul_f64 v[70:71], v[95:96], s[18:19]
	v_mul_f64 v[74:75], v[95:96], s[14:15]
	v_fma_f64 v[95:96], v[97:98], -0.5, v[8:9]
	v_fma_f64 v[97:98], v[101:102], -0.5, v[8:9]
	v_add_f64 v[101:102], v[52:53], v[56:57]
	v_fma_f64 v[2:3], v[113:114], s[8:9], v[103:104]
	v_fma_f64 v[56:57], v[132:133], s[16:17], v[85:86]
	;; [unrolled: 1-line block ×16, first 2 shown]
	v_add_f64 v[2:3], v[85:86], -v[68:69]
	v_add_f64 v[0:1], v[60:61], -v[52:53]
	;; [unrolled: 1-line block ×4, first 2 shown]
	v_cmpx_gt_u32_e32 54, v78
	s_cbranch_execz .LBB0_15
; %bb.14:
	v_mul_f64 v[120:121], v[117:118], s[4:5]
	v_mul_f64 v[122:123], v[99:100], s[4:5]
	;; [unrolled: 1-line block ×8, first 2 shown]
	v_add_f64 v[10:11], v[10:11], v[46:47]
	v_add_f64 v[38:39], v[38:39], v[42:43]
	;; [unrolled: 1-line block ×4, first 2 shown]
	v_mul_f64 v[40:41], v[83:84], s[16:17]
	v_mul_f64 v[42:43], v[58:59], s[16:17]
	;; [unrolled: 1-line block ×4, first 2 shown]
	v_add_f64 v[105:106], v[105:106], v[120:121]
	v_add_f64 v[72:73], v[72:73], -v[122:123]
	v_add_f64 v[62:63], v[124:125], v[62:63]
	v_add_f64 v[54:55], v[54:55], -v[126:127]
	v_mul_f64 v[120:121], v[109:110], s[4:5]
	v_mul_f64 v[122:123], v[111:112], s[4:5]
	;; [unrolled: 1-line block ×4, first 2 shown]
	v_add_f64 v[10:11], v[10:11], v[34:35]
	v_add_f64 v[30:31], v[38:39], v[30:31]
	;; [unrolled: 1-line block ×6, first 2 shown]
	v_add_f64 v[58:59], v[62:63], -v[64:65]
	v_add_f64 v[54:55], v[54:55], -v[66:67]
	v_mul_f64 v[62:63], v[111:112], s[6:7]
	v_mul_f64 v[64:65], v[109:110], s[6:7]
	;; [unrolled: 1-line block ×4, first 2 shown]
	v_add_f64 v[32:33], v[103:104], v[124:125]
	v_add_f64 v[34:35], v[107:108], -v[126:127]
	v_add_f64 v[10:11], v[10:11], v[22:23]
	v_add_f64 v[18:19], v[30:31], v[18:19]
	;; [unrolled: 1-line block ×6, first 2 shown]
	v_add_f64 v[40:41], v[95:96], -v[120:121]
	v_add_f64 v[42:43], v[122:123], v[97:98]
	v_add_f64 v[44:45], v[50:51], v[58:59]
	;; [unrolled: 1-line block ×3, first 2 shown]
	v_mul_f64 v[48:49], v[87:88], s[16:17]
	v_mul_f64 v[50:51], v[89:90], s[16:17]
	;; [unrolled: 1-line block ×3, first 2 shown]
	v_add_f64 v[20:21], v[66:67], v[32:33]
	v_add_f64 v[22:23], v[72:73], v[34:35]
	v_mul_f64 v[54:55], v[93:94], s[16:17]
	v_add_f64 v[26:27], v[18:19], v[26:27]
	v_add_f64 v[24:25], v[16:17], v[24:25]
	v_mul_f64 v[28:29], v[36:37], s[18:19]
	v_mul_f64 v[30:31], v[38:39], s[16:17]
	v_add_f64 v[32:33], v[40:41], -v[62:63]
	v_add_f64 v[34:35], v[42:43], -v[64:65]
	v_mul_f64 v[40:41], v[44:45], s[16:17]
	v_mul_f64 v[42:43], v[46:47], s[18:19]
	v_add_f64 v[62:63], v[10:11], v[14:15]
	v_add_f64 v[64:65], v[8:9], v[12:13]
	;; [unrolled: 1-line block ×8, first 2 shown]
	v_fma_f64 v[28:29], v[46:47], s[14:15], -v[28:29]
	v_fma_f64 v[44:45], v[44:45], s[8:9], -v[30:31]
	v_add_f64 v[46:47], v[48:49], v[32:33]
	v_add_f64 v[48:49], v[50:51], v[34:35]
	v_fma_f64 v[40:41], v[38:39], s[4:5], -v[40:41]
	v_fma_f64 v[42:43], v[36:37], s[6:7], -v[42:43]
	v_add_f64 v[22:23], v[62:63], v[26:27]
	v_add_f64 v[20:21], v[64:65], v[24:25]
	v_add_f64 v[18:19], v[62:63], -v[26:27]
	v_add_f64 v[16:17], v[64:65], -v[24:25]
	v_add_f64 v[34:35], v[54:55], v[28:29]
	v_add_f64 v[38:39], v[58:59], v[44:45]
	v_add_f64 v[26:27], v[54:55], -v[28:29]
	v_add_f64 v[30:31], v[58:59], -v[44:45]
	;; [unrolled: 4-line block ×3, first 2 shown]
	v_mul_i32_i24_e32 v40, 10, v82
	v_lshl_add_u32 v40, v40, 4, 0
	ds_write_b128 v40, v[0:3] offset:96
	ds_write_b128 v40, v[4:7] offset:112
	;; [unrolled: 1-line block ×4, first 2 shown]
	ds_write_b128 v40, v[20:23]
	ds_write_b128 v40, v[16:19] offset:80
	ds_write_b128 v40, v[36:39] offset:48
	;; [unrolled: 1-line block ×5, first 2 shown]
.LBB0_15:
	s_or_b32 exec_lo, exec_lo, s1
	v_and_b32_e32 v8, 0xff, v78
	v_mov_b32_e32 v9, 15
	s_waitcnt lgkmcnt(0)
	s_barrier
	buffer_gl0_inv
	v_mul_lo_u16 v8, 0xcd, v8
	v_lshl_add_u32 v88, v82, 4, 0
	s_mov_b32 s0, 0x667f3bcd
	s_mov_b32 s1, 0xbfe6a09e
	;; [unrolled: 1-line block ×3, first 2 shown]
	v_lshrrev_b16 v12, 11, v8
	s_mov_b32 s4, s0
	s_mov_b32 s6, 0xcf328d46
	;; [unrolled: 1-line block ×4, first 2 shown]
	v_mul_lo_u16 v8, v12, 10
	s_mov_b32 s16, s6
	s_mov_b32 s8, 0xa6aea964
	;; [unrolled: 1-line block ×4, first 2 shown]
	v_sub_nc_u16 v13, v78, v8
	s_mov_b32 s14, s8
	v_mov_b32_e32 v75, 0xa0
	v_mul_u32_u24_sdwa v8, v13, v9 dst_sel:DWORD dst_unused:UNUSED_PAD src0_sel:BYTE_0 src1_sel:DWORD
	v_mul_u32_u24_sdwa v12, v12, v75 dst_sel:DWORD dst_unused:UNUSED_PAD src0_sel:WORD_0 src1_sel:DWORD
	v_lshlrev_b32_e32 v14, 4, v8
	s_clause 0xe
	global_load_dwordx4 v[8:11], v14, s[12:13]
	global_load_dwordx4 v[15:18], v14, s[12:13] offset:16
	global_load_dwordx4 v[19:22], v14, s[12:13] offset:32
	;; [unrolled: 1-line block ×14, first 2 shown]
	v_mad_i32_i24 v14, 0xffffff70, v78, v79
	v_or_b32_sdwa v12, v12, v13 dst_sel:DWORD dst_unused:UNUSED_PAD src0_sel:DWORD src1_sel:BYTE_0
	ds_read_b128 v[71:74], v88
	ds_read_b128 v[83:86], v14 offset:2880
	ds_read_b128 v[89:92], v14 offset:4320
	;; [unrolled: 1-line block ×11, first 2 shown]
	v_lshl_add_u32 v12, v12, 4, 0
	s_waitcnt vmcnt(14) lgkmcnt(11)
	v_mul_f64 v[117:118], v[73:74], v[10:11]
	s_waitcnt vmcnt(13) lgkmcnt(10)
	v_mul_f64 v[132:133], v[85:86], v[17:18]
	v_mul_f64 v[10:11], v[71:72], v[10:11]
	;; [unrolled: 1-line block ×3, first 2 shown]
	s_waitcnt vmcnt(12) lgkmcnt(9)
	v_mul_f64 v[134:135], v[91:92], v[21:22]
	v_mul_f64 v[21:22], v[89:90], v[21:22]
	s_waitcnt vmcnt(11) lgkmcnt(8)
	v_mul_f64 v[136:137], v[95:96], v[25:26]
	v_mul_f64 v[25:26], v[93:94], v[25:26]
	;; [unrolled: 3-line block ×4, first 2 shown]
	v_fma_f64 v[117:118], v[71:72], v[8:9], -v[117:118]
	v_fma_f64 v[83:84], v[83:84], v[15:16], -v[132:133]
	s_waitcnt vmcnt(8) lgkmcnt(4)
	v_mul_f64 v[132:133], v[111:112], v[37:38]
	v_mul_f64 v[37:38], v[109:110], v[37:38]
	v_fma_f64 v[140:141], v[73:74], v[8:9], v[10:11]
	ds_read_b128 v[8:11], v119 offset:20160
	ds_read_b128 v[71:74], v119
	v_fma_f64 v[85:86], v[85:86], v[15:16], v[17:18]
	ds_read_b128 v[15:18], v119 offset:15840
	v_fma_f64 v[89:90], v[89:90], v[19:20], -v[134:135]
	v_fma_f64 v[91:92], v[91:92], v[19:20], v[21:22]
	ds_read_b128 v[19:22], v119 offset:18720
	s_waitcnt vmcnt(7) lgkmcnt(7)
	v_mul_f64 v[134:135], v[115:116], v[41:42]
	v_fma_f64 v[93:94], v[93:94], v[23:24], -v[136:137]
	v_fma_f64 v[23:24], v[95:96], v[23:24], v[25:26]
	v_mul_f64 v[25:26], v[113:114], v[41:42]
	s_waitcnt vmcnt(6) lgkmcnt(6)
	v_mul_f64 v[41:42], v[122:123], v[45:46]
	v_mul_f64 v[45:46], v[120:121], v[45:46]
	s_waitcnt vmcnt(5) lgkmcnt(5)
	v_mul_f64 v[95:96], v[126:127], v[49:50]
	v_fma_f64 v[97:98], v[97:98], v[27:28], -v[138:139]
	v_fma_f64 v[27:28], v[99:100], v[27:28], v[29:30]
	v_mul_f64 v[29:30], v[124:125], v[49:50]
	s_waitcnt vmcnt(4) lgkmcnt(4)
	v_mul_f64 v[49:50], v[130:131], v[53:54]
	v_mul_f64 v[53:54], v[128:129], v[53:54]
	v_fma_f64 v[105:106], v[105:106], v[31:32], -v[142:143]
	s_waitcnt vmcnt(3) lgkmcnt(3)
	v_mul_f64 v[99:100], v[10:11], v[57:58]
	v_fma_f64 v[31:32], v[107:108], v[31:32], v[33:34]
	v_mul_f64 v[33:34], v[8:9], v[57:58]
	s_waitcnt vmcnt(2) lgkmcnt(1)
	v_mul_f64 v[57:58], v[17:18], v[61:62]
	v_fma_f64 v[109:110], v[109:110], v[35:36], -v[132:133]
	v_fma_f64 v[35:36], v[111:112], v[35:36], v[37:38]
	s_waitcnt vmcnt(1) lgkmcnt(0)
	v_mul_f64 v[107:108], v[21:22], v[65:66]
	v_mul_f64 v[65:66], v[19:20], v[65:66]
	;; [unrolled: 1-line block ×3, first 2 shown]
	s_waitcnt vmcnt(0)
	v_mul_f64 v[61:62], v[101:102], v[69:70]
	v_mul_f64 v[69:70], v[103:104], v[69:70]
	v_fma_f64 v[111:112], v[113:114], v[39:40], -v[134:135]
	v_fma_f64 v[25:26], v[115:116], v[39:40], v[25:26]
	v_fma_f64 v[39:40], v[120:121], v[43:44], -v[41:42]
	v_fma_f64 v[41:42], v[122:123], v[43:44], v[45:46]
	v_fma_f64 v[43:44], v[124:125], v[47:48], -v[95:96]
	s_barrier
	v_fma_f64 v[29:30], v[126:127], v[47:48], v[29:30]
	buffer_gl0_inv
	v_fma_f64 v[45:46], v[130:131], v[51:52], v[53:54]
	v_fma_f64 v[8:9], v[8:9], v[55:56], -v[99:100]
	v_fma_f64 v[10:11], v[10:11], v[55:56], v[33:34]
	v_fma_f64 v[33:34], v[128:129], v[51:52], -v[49:50]
	v_fma_f64 v[15:16], v[15:16], v[59:60], -v[57:58]
	v_fma_f64 v[19:20], v[19:20], v[63:64], -v[107:108]
	v_fma_f64 v[21:22], v[21:22], v[63:64], v[65:66]
	v_fma_f64 v[17:18], v[17:18], v[59:60], v[37:38]
	;; [unrolled: 1-line block ×3, first 2 shown]
	v_fma_f64 v[47:48], v[101:102], v[67:68], -v[69:70]
	v_add_f64 v[49:50], v[71:72], -v[111:112]
	v_add_f64 v[25:26], v[73:74], -v[25:26]
	v_add_f64 v[39:40], v[93:94], -v[39:40]
	v_add_f64 v[41:42], v[23:24], -v[41:42]
	v_add_f64 v[43:44], v[83:84], -v[43:44]
	v_add_f64 v[29:30], v[85:86], -v[29:30]
	v_add_f64 v[45:46], v[140:141], -v[45:46]
	v_add_f64 v[8:9], v[105:106], -v[8:9]
	v_add_f64 v[10:11], v[31:32], -v[10:11]
	v_add_f64 v[33:34], v[117:118], -v[33:34]
	v_add_f64 v[15:16], v[89:90], -v[15:16]
	v_add_f64 v[19:20], v[97:98], -v[19:20]
	v_add_f64 v[21:22], v[27:28], -v[21:22]
	v_add_f64 v[17:18], v[91:92], -v[17:18]
	v_add_f64 v[37:38], v[35:36], -v[37:38]
	v_add_f64 v[47:48], v[109:110], -v[47:48]
	v_fma_f64 v[51:52], v[71:72], 2.0, -v[49:50]
	v_fma_f64 v[53:54], v[73:74], 2.0, -v[25:26]
	;; [unrolled: 1-line block ×3, first 2 shown]
	v_add_f64 v[57:58], v[49:50], -v[41:42]
	v_add_f64 v[39:40], v[25:26], v[39:40]
	v_fma_f64 v[23:24], v[23:24], 2.0, -v[41:42]
	v_fma_f64 v[41:42], v[83:84], 2.0, -v[43:44]
	;; [unrolled: 1-line block ×4, first 2 shown]
	v_add_f64 v[61:62], v[29:30], v[8:9]
	v_fma_f64 v[8:9], v[105:106], 2.0, -v[8:9]
	v_add_f64 v[59:60], v[43:44], -v[10:11]
	v_fma_f64 v[10:11], v[31:32], 2.0, -v[10:11]
	v_fma_f64 v[31:32], v[117:118], 2.0, -v[33:34]
	v_add_f64 v[65:66], v[45:46], v[19:20]
	v_add_f64 v[63:64], v[33:34], -v[21:22]
	v_fma_f64 v[19:20], v[97:98], 2.0, -v[19:20]
	v_add_f64 v[67:68], v[15:16], -v[37:38]
	v_add_f64 v[69:70], v[17:18], v[47:48]
	v_fma_f64 v[21:22], v[27:28], 2.0, -v[21:22]
	v_fma_f64 v[27:28], v[89:90], 2.0, -v[15:16]
	;; [unrolled: 1-line block ×7, first 2 shown]
	v_add_f64 v[49:50], v[51:52], -v[55:56]
	v_add_f64 v[23:24], v[53:54], -v[23:24]
	v_fma_f64 v[29:30], v[29:30], 2.0, -v[61:62]
	v_add_f64 v[8:9], v[41:42], -v[8:9]
	v_fma_f64 v[43:44], v[43:44], 2.0, -v[59:60]
	v_add_f64 v[10:11], v[71:72], -v[10:11]
	v_fma_f64 v[85:86], v[61:62], s[4:5], v[39:40]
	v_fma_f64 v[55:56], v[59:60], s[4:5], v[57:58]
	v_fma_f64 v[45:46], v[45:46], 2.0, -v[65:66]
	v_fma_f64 v[33:34], v[33:34], 2.0, -v[63:64]
	v_add_f64 v[19:20], v[31:32], -v[19:20]
	v_fma_f64 v[15:16], v[15:16], 2.0, -v[67:68]
	v_fma_f64 v[17:18], v[17:18], 2.0, -v[69:70]
	v_add_f64 v[21:22], v[73:74], -v[21:22]
	v_fma_f64 v[89:90], v[67:68], s[4:5], v[63:64]
	v_fma_f64 v[91:92], v[69:70], s[4:5], v[65:66]
	v_add_f64 v[47:48], v[27:28], -v[47:48]
	v_add_f64 v[35:36], v[83:84], -v[35:36]
	v_fma_f64 v[51:52], v[51:52], 2.0, -v[49:50]
	v_fma_f64 v[53:54], v[53:54], 2.0, -v[23:24]
	v_fma_f64 v[95:96], v[29:30], s[0:1], v[25:26]
	v_fma_f64 v[41:42], v[41:42], 2.0, -v[8:9]
	v_fma_f64 v[93:94], v[43:44], s[0:1], v[37:38]
	v_fma_f64 v[71:72], v[71:72], 2.0, -v[10:11]
	v_add_f64 v[101:102], v[49:50], -v[10:11]
	v_add_f64 v[103:104], v[23:24], v[8:9]
	v_fma_f64 v[59:60], v[59:60], s[4:5], v[85:86]
	v_fma_f64 v[55:56], v[61:62], s[0:1], v[55:56]
	v_fma_f64 v[31:32], v[31:32], 2.0, -v[19:20]
	v_fma_f64 v[97:98], v[15:16], s[0:1], v[33:34]
	v_fma_f64 v[99:100], v[17:18], s[0:1], v[45:46]
	v_fma_f64 v[73:74], v[73:74], 2.0, -v[21:22]
	v_fma_f64 v[61:62], v[67:68], s[4:5], v[91:92]
	v_fma_f64 v[8:9], v[27:28], 2.0, -v[47:48]
	v_fma_f64 v[10:11], v[83:84], 2.0, -v[35:36]
	v_add_f64 v[27:28], v[19:20], -v[35:36]
	v_add_f64 v[35:36], v[21:22], v[47:48]
	v_fma_f64 v[47:48], v[69:70], s[0:1], v[89:90]
	v_fma_f64 v[69:70], v[43:44], s[4:5], v[95:96]
	v_add_f64 v[85:86], v[51:52], -v[41:42]
	v_fma_f64 v[67:68], v[29:30], s[0:1], v[93:94]
	v_add_f64 v[71:72], v[53:54], -v[71:72]
	v_fma_f64 v[89:90], v[49:50], 2.0, -v[101:102]
	v_fma_f64 v[91:92], v[23:24], 2.0, -v[103:104]
	;; [unrolled: 1-line block ×4, first 2 shown]
	v_fma_f64 v[43:44], v[17:18], s[0:1], v[97:98]
	v_fma_f64 v[83:84], v[15:16], s[4:5], v[99:100]
	v_fma_f64 v[49:50], v[65:66], 2.0, -v[61:62]
	v_add_f64 v[8:9], v[31:32], -v[8:9]
	v_add_f64 v[10:11], v[73:74], -v[10:11]
	v_fma_f64 v[29:30], v[19:20], 2.0, -v[27:28]
	v_fma_f64 v[39:40], v[21:22], 2.0, -v[35:36]
	;; [unrolled: 1-line block ×3, first 2 shown]
	v_fma_f64 v[19:20], v[27:28], s[4:5], v[101:102]
	v_fma_f64 v[21:22], v[35:36], s[4:5], v[103:104]
	;; [unrolled: 1-line block ×3, first 2 shown]
	v_fma_f64 v[99:100], v[25:26], 2.0, -v[69:70]
	v_fma_f64 v[25:26], v[61:62], s[16:17], v[59:60]
	v_fma_f64 v[97:98], v[37:38], 2.0, -v[67:68]
	v_fma_f64 v[63:64], v[51:52], 2.0, -v[85:86]
	;; [unrolled: 1-line block ×5, first 2 shown]
	v_fma_f64 v[105:106], v[43:44], s[14:15], v[67:68]
	v_fma_f64 v[107:108], v[83:84], s[14:15], v[69:70]
	v_fma_f64 v[31:32], v[31:32], 2.0, -v[8:9]
	v_fma_f64 v[33:34], v[73:74], 2.0, -v[10:11]
	v_fma_f64 v[37:38], v[29:30], s[0:1], v[89:90]
	v_fma_f64 v[51:52], v[39:40], s[0:1], v[91:92]
	;; [unrolled: 1-line block ×4, first 2 shown]
	v_add_f64 v[15:16], v[85:86], -v[10:11]
	v_add_f64 v[17:18], v[71:72], v[8:9]
	v_fma_f64 v[19:20], v[35:36], s[0:1], v[19:20]
	v_fma_f64 v[21:22], v[27:28], s[4:5], v[21:22]
	;; [unrolled: 1-line block ×7, first 2 shown]
	v_add_f64 v[23:24], v[63:64], -v[31:32]
	v_add_f64 v[25:26], v[65:66], -v[33:34]
	v_fma_f64 v[27:28], v[39:40], s[0:1], v[37:38]
	v_fma_f64 v[29:30], v[29:30], s[4:5], v[51:52]
	;; [unrolled: 1-line block ×5, first 2 shown]
	v_fma_f64 v[43:44], v[85:86], 2.0, -v[15:16]
	v_fma_f64 v[47:48], v[101:102], 2.0, -v[19:20]
	;; [unrolled: 1-line block ×5, first 2 shown]
	v_cmp_gt_u32_e64 s0, 30, v78
	v_fma_f64 v[39:40], v[45:46], s[8:9], v[109:110]
	v_fma_f64 v[41:42], v[57:58], s[14:15], v[111:112]
	v_fma_f64 v[45:46], v[71:72], 2.0, -v[17:18]
	v_fma_f64 v[67:68], v[67:68], 2.0, -v[35:36]
	;; [unrolled: 1-line block ×11, first 2 shown]
	ds_write_b128 v12, v[15:18] offset:1920
	ds_write_b128 v12, v[19:22] offset:2240
	;; [unrolled: 1-line block ×10, first 2 shown]
	ds_write_b128 v12, v[55:58]
	ds_write_b128 v12, v[59:62] offset:320
	ds_write_b128 v12, v[63:66] offset:480
	;; [unrolled: 1-line block ×5, first 2 shown]
	s_waitcnt lgkmcnt(0)
	s_barrier
	buffer_gl0_inv
	ds_read_b128 v[28:31], v119
	ds_read_b128 v[68:71], v119 offset:7680
	ds_read_b128 v[60:63], v119 offset:15360
	;; [unrolled: 1-line block ×12, first 2 shown]
	ds_read_b128 v[24:27], v88
	ds_read_b128 v[36:39], v119 offset:21120
	v_mul_i32_i24_e32 v72, 0xffffff70, v78
	v_add_nc_u32_e32 v89, v79, v72
	s_and_saveexec_b32 s1, s0
	s_cbranch_execz .LBB0_17
; %bb.16:
	ds_read_b128 v[8:11], v89 offset:7200
	ds_read_b128 v[0:3], v119 offset:14880
	;; [unrolled: 1-line block ×3, first 2 shown]
.LBB0_17:
	s_or_b32 exec_lo, exec_lo, s1
	v_lshlrev_b32_e32 v90, 1, v78
	v_mov_b32_e32 v91, 0
	v_add_nc_u32_e32 v87, 0xffffffba, v78
	v_add_nc_u32_e32 v86, 0x10e, v78
	v_mov_b32_e32 v92, 0xcccd
	v_add_nc_u32_e32 v85, 0x168, v78
	v_lshlrev_b64 v[72:73], 4, v[90:91]
	v_add_nc_u32_e32 v84, 0x1c2, v78
	v_add_nc_u32_e32 v90, 40, v90
	v_mov_b32_e32 v93, v91
	v_mul_u32_u24_sdwa v94, v85, v92 dst_sel:DWORD dst_unused:UNUSED_PAD src0_sel:WORD_0 src1_sel:DWORD
	v_mov_b32_e32 v101, 5
	v_add_co_u32 v79, s1, s12, v72
	v_add_co_ci_u32_e64 v83, s1, s13, v73, s1
	v_mul_u32_u24_sdwa v95, v84, v92 dst_sel:DWORD dst_unused:UNUSED_PAD src0_sel:WORD_0 src1_sel:DWORD
	v_add_co_u32 v72, s1, 0x800, v79
	v_add_co_ci_u32_e64 v73, s1, 0, v83, s1
	v_cmp_gt_u32_e64 s1, 0x46, v78
	v_lshlrev_b64 v[90:91], 4, v[90:91]
	s_mov_b32 s4, 0xe8584caa
	global_load_dwordx4 v[72:75], v[72:73], off offset:352
	s_mov_b32 s5, 0x3febb67a
	v_cndmask_b32_e64 v136, v87, v82, s1
	v_mul_u32_u24_sdwa v87, v86, v92 dst_sel:DWORD dst_unused:UNUSED_PAD src0_sel:WORD_0 src1_sel:DWORD
	s_mov_b32 s7, 0xbfebb67a
	s_mov_b32 s6, s4
	v_lshlrev_b32_e32 v92, 1, v136
	v_lshrrev_b32_e32 v137, 23, v87
	v_lshrrev_b32_e32 v87, 23, v94
	;; [unrolled: 1-line block ×3, first 2 shown]
	v_lshlrev_b32_e32 v136, 4, v136
	v_lshlrev_b64 v[95:96], 4, v[92:93]
	v_add_co_u32 v92, s1, 0x960, v79
	v_add_co_ci_u32_e64 v93, s1, 0, v83, s1
	v_add_co_u32 v90, s1, s12, v90
	v_mul_lo_u16 v98, 0xa0, v94
	v_add_co_ci_u32_e64 v100, s1, s13, v91, s1
	global_load_dwordx4 v[91:94], v[92:93], off offset:16
	v_mul_lo_u16 v97, 0xa0, v137
	v_sub_nc_u16 v102, v84, v98
	v_mul_lo_u16 v87, 0xa0, v87
	v_mul_u32_u24_e32 v137, 0x1e00, v137
	v_sub_nc_u16 v138, v86, v97
	v_add_co_u32 v97, s1, 0x800, v90
	v_add_co_ci_u32_e64 v98, s1, 0, v100, s1
	v_add_co_u32 v99, s1, 0x960, v90
	v_add_co_ci_u32_e64 v100, s1, 0, v100, s1
	;; [unrolled: 2-line block ×3, first 2 shown]
	v_lshlrev_b32_sdwa v109, v101, v138 dst_sel:DWORD dst_unused:UNUSED_PAD src0_sel:DWORD src1_sel:WORD_0
	v_and_b32_e32 v90, 0xffff, v102
	s_clause 0x1
	global_load_dwordx4 v[95:98], v[97:98], off offset:352
	global_load_dwordx4 v[99:102], v[99:100], off offset:16
	v_add_co_u32 v103, s1, 0x800, v105
	v_sub_nc_u16 v87, v85, v87
	v_add_co_ci_u32_e64 v104, s1, 0, v106, s1
	v_add_co_u32 v107, s1, 0x960, v105
	v_add_co_ci_u32_e64 v108, s1, 0, v106, s1
	v_add_co_u32 v113, s1, s12, v109
	v_and_b32_e32 v87, 0xffff, v87
	v_add_co_ci_u32_e64 v114, null, s13, 0, s1
	v_add_co_u32 v111, s1, 0x800, v113
	v_lshlrev_b32_e32 v117, 5, v87
	v_add_co_ci_u32_e64 v112, s1, 0, v114, s1
	v_add_co_u32 v115, s1, 0x960, v113
	v_lshlrev_b32_e32 v118, 5, v90
	s_clause 0x1
	global_load_dwordx4 v[103:106], v[103:104], off offset:352
	global_load_dwordx4 v[107:110], v[107:108], off offset:16
	v_add_co_ci_u32_e64 v116, s1, 0, v114, s1
	v_add_co_u32 v122, s1, s12, v117
	v_add_co_ci_u32_e64 v123, null, s13, 0, s1
	v_add_co_u32 v132, s1, s12, v118
	v_add_co_ci_u32_e64 v133, null, s13, 0, s1
	v_add_co_u32 v120, s1, 0x800, v122
	v_add_co_ci_u32_e64 v121, s1, 0, v123, s1
	v_add_co_u32 v124, s1, 0x960, v122
	v_add_co_ci_u32_e64 v125, s1, 0, v123, s1
	;; [unrolled: 2-line block ×4, first 2 shown]
	s_clause 0x3
	global_load_dwordx4 v[111:114], v[111:112], off offset:352
	global_load_dwordx4 v[115:118], v[115:116], off offset:16
	;; [unrolled: 1-line block ×4, first 2 shown]
	v_cmp_lt_u32_e64 s1, 0x45, v78
	v_cndmask_b32_e64 v139, 0, 0x1e00, s1
	s_waitcnt vmcnt(9) lgkmcnt(13)
	v_mul_f64 v[128:129], v[70:71], v[74:75]
	v_mul_f64 v[74:75], v[68:69], v[74:75]
	v_fma_f64 v[134:135], v[68:69], v[72:73], -v[128:129]
	global_load_dwordx4 v[128:131], v[130:131], off offset:352
	v_fma_f64 v[72:73], v[70:71], v[72:73], v[74:75]
	global_load_dwordx4 v[68:71], v[132:133], off offset:16
	s_waitcnt vmcnt(10) lgkmcnt(12)
	v_mul_f64 v[74:75], v[62:63], v[93:94]
	v_mul_f64 v[93:94], v[60:61], v[93:94]
	s_waitcnt vmcnt(0) lgkmcnt(0)
	s_barrier
	buffer_gl0_inv
	v_mul_f64 v[132:133], v[66:67], v[97:98]
	v_fma_f64 v[60:61], v[60:61], v[91:92], -v[74:75]
	v_mul_f64 v[74:75], v[64:65], v[97:98]
	v_fma_f64 v[62:63], v[62:63], v[91:92], v[93:94]
	v_mul_f64 v[91:92], v[58:59], v[101:102]
	v_mul_f64 v[93:94], v[56:57], v[101:102]
	v_fma_f64 v[64:65], v[64:65], v[95:96], -v[132:133]
	v_mul_f64 v[97:98], v[54:55], v[105:106]
	v_mul_f64 v[101:102], v[44:45], v[109:110]
	v_mov_b32_e32 v132, 4
	v_fma_f64 v[66:67], v[66:67], v[95:96], v[74:75]
	v_mul_f64 v[95:96], v[46:47], v[109:110]
	v_mul_f64 v[74:75], v[52:53], v[105:106]
	v_fma_f64 v[56:57], v[56:57], v[99:100], -v[91:92]
	v_fma_f64 v[58:59], v[58:59], v[99:100], v[93:94]
	v_lshlrev_b32_sdwa v138, v132, v138 dst_sel:DWORD dst_unused:UNUSED_PAD src0_sel:DWORD src1_sel:WORD_0
	v_fma_f64 v[52:53], v[52:53], v[103:104], -v[97:98]
	v_fma_f64 v[46:47], v[46:47], v[107:108], v[101:102]
	v_mul_f64 v[91:92], v[50:51], v[113:114]
	v_mul_f64 v[93:94], v[48:49], v[113:114]
	;; [unrolled: 1-line block ×3, first 2 shown]
	v_fma_f64 v[44:45], v[44:45], v[107:108], -v[95:96]
	v_mul_f64 v[105:106], v[40:41], v[117:118]
	v_fma_f64 v[54:55], v[54:55], v[103:104], v[74:75]
	v_mul_f64 v[74:75], v[34:35], v[122:123]
	v_mul_f64 v[97:98], v[32:33], v[122:123]
	v_mul_f64 v[103:104], v[38:39], v[126:127]
	v_mul_f64 v[109:110], v[36:37], v[126:127]
	v_fma_f64 v[48:49], v[48:49], v[111:112], -v[91:92]
	v_fma_f64 v[50:51], v[50:51], v[111:112], v[93:94]
	v_fma_f64 v[40:41], v[40:41], v[115:116], -v[99:100]
	v_add_f64 v[93:94], v[134:135], v[60:61]
	v_fma_f64 v[42:43], v[42:43], v[115:116], v[105:106]
	v_add_f64 v[91:92], v[28:29], v[134:135]
	v_add_f64 v[99:100], v[30:31], v[72:73]
	v_fma_f64 v[74:75], v[32:33], v[120:121], -v[74:75]
	v_fma_f64 v[97:98], v[34:35], v[120:121], v[97:98]
	v_fma_f64 v[103:104], v[36:37], v[124:125], -v[103:104]
	v_fma_f64 v[109:110], v[38:39], v[124:125], v[109:110]
	v_add_f64 v[115:116], v[52:53], -v[44:45]
	v_add_f64 v[105:106], v[72:73], -v[62:63]
	v_add_f64 v[72:73], v[72:73], v[62:63]
	v_add_f64 v[38:39], v[22:23], v[66:67]
	v_add_f64 v[113:114], v[54:55], -v[46:47]
	v_add_f64 v[36:37], v[20:21], v[64:65]
	v_add_f64 v[111:112], v[134:135], -v[60:61]
	v_add_f64 v[120:121], v[18:19], v[50:51]
	v_add_f64 v[117:118], v[48:49], v[40:41]
	v_add_f64 v[126:127], v[48:49], -v[40:41]
	v_add_f64 v[122:123], v[50:51], v[42:43]
	v_add_f64 v[32:33], v[91:92], v[60:61]
	;; [unrolled: 1-line block ×3, first 2 shown]
	v_add_f64 v[124:125], v[50:51], -v[42:43]
	v_add_f64 v[60:61], v[12:13], v[74:75]
	v_add_f64 v[62:63], v[74:75], v[103:104]
	;; [unrolled: 1-line block ×3, first 2 shown]
	v_add_f64 v[74:75], v[74:75], -v[103:104]
	v_fma_f64 v[50:51], v[72:73], -0.5, v[30:31]
	v_add_f64 v[30:31], v[38:39], v[58:59]
	v_add_f64 v[72:73], v[14:15], v[97:98]
	v_add_f64 v[97:98], v[97:98], -v[109:110]
	v_fma_f64 v[91:92], v[91:92], -0.5, v[14:15]
	v_fma_f64 v[38:39], v[111:112], s[4:5], v[50:51]
	v_add_f64 v[14:15], v[72:73], v[109:110]
	v_add3_u32 v72, 0, v139, v136
	v_add3_u32 v73, 0, v137, v138
	v_mul_f64 v[95:96], v[2:3], v[130:131]
	v_mul_f64 v[101:102], v[0:1], v[130:131]
	;; [unrolled: 1-line block ×4, first 2 shown]
	v_fma_f64 v[0:1], v[0:1], v[128:129], -v[95:96]
	v_fma_f64 v[2:3], v[2:3], v[128:129], v[101:102]
	v_fma_f64 v[4:5], v[4:5], v[68:69], -v[107:108]
	v_fma_f64 v[6:7], v[6:7], v[68:69], v[70:71]
	v_add_f64 v[95:96], v[24:25], v[52:53]
	v_add_f64 v[101:102], v[52:53], v[44:45]
	;; [unrolled: 1-line block ×3, first 2 shown]
	v_fma_f64 v[48:49], v[93:94], -0.5, v[28:29]
	v_add_f64 v[70:71], v[66:67], -v[58:59]
	v_add_f64 v[66:67], v[66:67], v[58:59]
	v_add_f64 v[107:108], v[26:27], v[54:55]
	;; [unrolled: 1-line block ×4, first 2 shown]
	v_add_f64 v[64:65], v[64:65], -v[56:57]
	v_add_f64 v[28:29], v[36:37], v[56:57]
	v_add_f64 v[99:100], v[8:9], v[0:1]
	;; [unrolled: 1-line block ×5, first 2 shown]
	v_add_f64 v[132:133], v[2:3], -v[6:7]
	v_add_f64 v[134:135], v[0:1], -v[4:5]
	v_fma_f64 v[36:37], v[105:106], s[6:7], v[48:49]
	v_fma_f64 v[58:59], v[66:67], -0.5, v[22:23]
	v_fma_f64 v[66:67], v[101:102], -0.5, v[24:25]
	;; [unrolled: 1-line block ×4, first 2 shown]
	v_add_f64 v[20:21], v[95:96], v[44:45]
	v_fma_f64 v[68:69], v[117:118], -0.5, v[16:17]
	v_fma_f64 v[95:96], v[122:123], -0.5, v[18:19]
	;; [unrolled: 1-line block ×3, first 2 shown]
	v_fma_f64 v[16:17], v[105:106], s[4:5], v[48:49]
	v_fma_f64 v[18:19], v[111:112], s[6:7], v[50:51]
	v_add_f64 v[22:23], v[107:108], v[46:47]
	v_add_f64 v[24:25], v[52:53], v[40:41]
	;; [unrolled: 1-line block ×5, first 2 shown]
	v_fma_f64 v[8:9], v[93:94], -0.5, v[8:9]
	v_fma_f64 v[10:11], v[128:129], -0.5, v[10:11]
	v_add_f64 v[12:13], v[60:61], v[103:104]
	v_fma_f64 v[42:43], v[64:65], s[6:7], v[58:59]
	v_fma_f64 v[48:49], v[113:114], s[4:5], v[66:67]
	;; [unrolled: 1-line block ×20, first 2 shown]
	v_lshl_add_u32 v74, v87, 4, 0
	ds_write_b128 v119, v[32:35]
	ds_write_b128 v119, v[16:19] offset:2560
	ds_write_b128 v119, v[36:39] offset:5120
	ds_write_b128 v72, v[20:23]
	ds_write_b128 v72, v[48:51] offset:2560
	ds_write_b128 v72, v[52:55] offset:5120
	;; [unrolled: 1-line block ×5, first 2 shown]
	ds_write_b128 v73, v[24:27]
	ds_write_b128 v73, v[56:59] offset:2560
	ds_write_b128 v73, v[60:63] offset:5120
	;; [unrolled: 1-line block ×5, first 2 shown]
	s_and_saveexec_b32 s1, s0
	s_cbranch_execz .LBB0_19
; %bb.18:
	v_lshl_add_u32 v12, v90, 4, 0
	ds_write_b128 v12, v[0:3] offset:15360
	ds_write_b128 v12, v[4:7] offset:17920
	;; [unrolled: 1-line block ×3, first 2 shown]
.LBB0_19:
	s_or_b32 exec_lo, exec_lo, s1
	s_waitcnt lgkmcnt(0)
	s_barrier
	buffer_gl0_inv
	ds_read_b128 v[24:27], v119
	ds_read_b128 v[68:71], v119 offset:7680
	ds_read_b128 v[64:67], v119 offset:15360
	;; [unrolled: 1-line block ×12, first 2 shown]
	ds_read_b128 v[28:31], v88
	ds_read_b128 v[40:43], v119 offset:21120
	s_and_saveexec_b32 s1, s0
	s_cbranch_execz .LBB0_21
; %bb.20:
	ds_read_b128 v[0:3], v89 offset:7200
	ds_read_b128 v[4:7], v119 offset:14880
	;; [unrolled: 1-line block ×3, first 2 shown]
.LBB0_21:
	s_or_b32 exec_lo, exec_lo, s1
	v_lshlrev_b32_e32 v73, 1, v82
	v_mov_b32_e32 v74, 0
	v_add_co_u32 v90, s1, 0x1800, v79
	v_add_nc_u32_e32 v72, 0xb4, v78
	v_add_co_ci_u32_e64 v91, s1, 0, v83, s1
	v_lshlrev_b64 v[98:99], 4, v[73:74]
	v_add_co_u32 v94, s1, 0x1d60, v79
	v_add_co_ci_u32_e64 v95, s1, 0, v83, s1
	v_lshlrev_b32_e32 v73, 1, v72
	v_add_co_u32 v75, s1, s12, v98
	v_add_co_ci_u32_e64 v79, s1, s13, v99, s1
	v_lshlrev_b64 v[100:101], 4, v[73:74]
	v_add_co_u32 v98, s1, 0x1800, v75
	v_add_co_ci_u32_e64 v99, s1, 0, v79, s1
	v_add_co_u32 v102, s1, 0x1d60, v75
	v_add_co_ci_u32_e64 v103, s1, 0, v79, s1
	v_lshlrev_b32_e32 v73, 1, v86
	v_add_co_u32 v75, s1, s12, v100
	v_add_co_ci_u32_e64 v79, s1, s13, v101, s1
	v_lshlrev_b64 v[106:107], 4, v[73:74]
	v_add_co_u32 v108, s1, 0x1800, v75
	v_lshlrev_b32_e32 v73, 1, v85
	v_add_co_ci_u32_e64 v109, s1, 0, v79, s1
	s_clause 0x1
	global_load_dwordx4 v[90:93], v[90:91], off offset:1376
	global_load_dwordx4 v[94:97], v[94:95], off offset:16
	v_add_co_u32 v110, s1, 0x1d60, v75
	v_add_co_ci_u32_e64 v111, s1, 0, v79, s1
	v_lshlrev_b64 v[114:115], 4, v[73:74]
	v_add_co_u32 v73, s1, s12, v106
	v_add_co_ci_u32_e64 v75, s1, s13, v107, s1
	s_clause 0x1
	global_load_dwordx4 v[98:101], v[98:99], off offset:1376
	global_load_dwordx4 v[102:105], v[102:103], off offset:16
	v_add_co_u32 v120, s1, 0x1d60, v73
	v_add_co_ci_u32_e64 v121, s1, 0, v75, s1
	v_add_co_u32 v79, s1, s12, v114
	v_add_co_ci_u32_e64 v83, s1, s13, v115, s1
	;; [unrolled: 2-line block ×4, first 2 shown]
	s_clause 0x1
	global_load_dwordx4 v[106:109], v[108:109], off offset:1376
	global_load_dwordx4 v[110:113], v[110:111], off offset:16
	v_add_co_u32 v128, s1, 0x1d60, v79
	v_add_co_ci_u32_e64 v129, s1, 0, v83, s1
	s_clause 0x3
	global_load_dwordx4 v[114:117], v[114:115], off offset:1376
	global_load_dwordx4 v[120:123], v[120:121], off offset:16
	;; [unrolled: 1-line block ×4, first 2 shown]
	s_mov_b32 s6, s4
	s_waitcnt vmcnt(0) lgkmcnt(0)
	s_barrier
	buffer_gl0_inv
	v_mul_f64 v[132:133], v[70:71], v[92:93]
	v_mul_f64 v[92:93], v[68:69], v[92:93]
	;; [unrolled: 1-line block ×8, first 2 shown]
	v_fma_f64 v[68:69], v[68:69], v[90:91], -v[132:133]
	v_fma_f64 v[70:71], v[70:71], v[90:91], v[92:93]
	v_fma_f64 v[64:65], v[64:65], v[94:95], -v[134:135]
	v_fma_f64 v[66:67], v[66:67], v[94:95], v[96:97]
	v_mul_f64 v[140:141], v[54:55], v[108:109]
	v_mul_f64 v[108:109], v[52:53], v[108:109]
	v_mul_f64 v[142:143], v[58:59], v[112:113]
	v_mul_f64 v[112:113], v[56:57], v[112:113]
	v_mul_f64 v[90:91], v[46:47], v[116:117]
	v_mul_f64 v[92:93], v[44:45], v[116:117]
	v_mul_f64 v[94:95], v[34:35], v[122:123]
	v_mul_f64 v[96:97], v[32:33], v[122:123]
	v_mul_f64 v[116:117], v[38:39], v[126:127]
	v_mul_f64 v[122:123], v[42:43], v[130:131]
	v_mul_f64 v[126:127], v[36:37], v[126:127]
	v_mul_f64 v[130:131], v[40:41], v[130:131]
	v_fma_f64 v[60:61], v[60:61], v[98:99], -v[136:137]
	v_fma_f64 v[62:63], v[62:63], v[98:99], v[100:101]
	v_fma_f64 v[48:49], v[48:49], v[102:103], -v[138:139]
	v_fma_f64 v[50:51], v[50:51], v[102:103], v[104:105]
	v_add_f64 v[98:99], v[24:25], v[68:69]
	v_add_f64 v[102:103], v[26:27], v[70:71]
	;; [unrolled: 1-line block ×3, first 2 shown]
	v_add_f64 v[68:69], v[68:69], -v[64:65]
	v_fma_f64 v[52:53], v[52:53], v[106:107], -v[140:141]
	v_fma_f64 v[54:55], v[54:55], v[106:107], v[108:109]
	v_fma_f64 v[56:57], v[56:57], v[110:111], -v[142:143]
	v_fma_f64 v[58:59], v[58:59], v[110:111], v[112:113]
	;; [unrolled: 2-line block ×4, first 2 shown]
	v_fma_f64 v[36:37], v[36:37], v[124:125], -v[116:117]
	v_fma_f64 v[40:41], v[40:41], v[128:129], -v[122:123]
	v_fma_f64 v[38:39], v[38:39], v[124:125], v[126:127]
	v_fma_f64 v[42:43], v[42:43], v[128:129], v[130:131]
	v_add_f64 v[94:95], v[70:71], v[66:67]
	v_add_f64 v[108:109], v[30:31], v[62:63]
	;; [unrolled: 1-line block ×3, first 2 shown]
	v_add_f64 v[106:107], v[62:63], -v[50:51]
	v_add_f64 v[62:63], v[62:63], v[50:51]
	v_add_f64 v[96:97], v[28:29], v[60:61]
	;; [unrolled: 1-line block ×3, first 2 shown]
	v_add_f64 v[70:71], v[70:71], -v[66:67]
	v_add_f64 v[34:35], v[102:103], v[66:67]
	v_fma_f64 v[24:25], v[100:101], -0.5, v[24:25]
	v_add_f64 v[110:111], v[20:21], v[52:53]
	v_add_f64 v[116:117], v[22:23], v[54:55]
	;; [unrolled: 1-line block ×3, first 2 shown]
	v_add_f64 v[114:115], v[54:55], -v[58:59]
	v_add_f64 v[54:55], v[54:55], v[58:59]
	v_add_f64 v[120:121], v[52:53], -v[56:57]
	v_add_f64 v[52:53], v[44:45], v[90:91]
	v_add_f64 v[64:65], v[46:47], v[92:93]
	v_add_f64 v[60:61], v[60:61], -v[48:49]
	v_add_f64 v[98:99], v[36:37], v[40:41]
	v_add_f64 v[102:103], v[44:45], -v[90:91]
	v_add_f64 v[66:67], v[38:39], v[42:43]
	v_fma_f64 v[26:27], v[94:95], -0.5, v[26:27]
	v_add_f64 v[94:95], v[12:13], v[44:45]
	v_add_f64 v[44:45], v[16:17], v[36:37]
	;; [unrolled: 1-line block ×3, first 2 shown]
	v_fma_f64 v[104:105], v[104:105], -0.5, v[28:29]
	v_fma_f64 v[62:63], v[62:63], -0.5, v[30:31]
	v_add_f64 v[100:101], v[46:47], -v[92:93]
	v_add_f64 v[46:47], v[14:15], v[46:47]
	v_add_f64 v[124:125], v[38:39], -v[42:43]
	v_add_f64 v[126:127], v[36:37], -v[40:41]
	v_fma_f64 v[112:113], v[112:113], -0.5, v[20:21]
	v_add_f64 v[20:21], v[96:97], v[48:49]
	v_fma_f64 v[54:55], v[54:55], -0.5, v[22:23]
	v_add_f64 v[22:23], v[108:109], v[50:51]
	v_fma_f64 v[96:97], v[52:53], -0.5, v[12:13]
	v_fma_f64 v[64:65], v[64:65], -0.5, v[14:15]
	v_add_f64 v[12:13], v[110:111], v[56:57]
	v_fma_f64 v[98:99], v[98:99], -0.5, v[16:17]
	v_fma_f64 v[16:17], v[70:71], s[4:5], v[24:25]
	v_fma_f64 v[108:109], v[66:67], -0.5, v[18:19]
	v_fma_f64 v[18:19], v[68:69], s[6:7], v[26:27]
	v_fma_f64 v[24:25], v[70:71], s[6:7], v[24:25]
	;; [unrolled: 1-line block ×3, first 2 shown]
	v_add_f64 v[36:37], v[44:45], v[40:41]
	v_add_f64 v[38:39], v[122:123], v[42:43]
	v_fma_f64 v[40:41], v[106:107], s[4:5], v[104:105]
	v_fma_f64 v[42:43], v[60:61], s[6:7], v[62:63]
	v_add_f64 v[30:31], v[46:47], v[92:93]
	v_fma_f64 v[44:45], v[106:107], s[6:7], v[104:105]
	v_fma_f64 v[46:47], v[60:61], s[4:5], v[62:63]
	v_add_f64 v[14:15], v[116:117], v[58:59]
	v_add_f64 v[28:29], v[94:95], v[90:91]
	v_fma_f64 v[48:49], v[114:115], s[4:5], v[112:113]
	v_fma_f64 v[52:53], v[114:115], s[6:7], v[112:113]
	;; [unrolled: 1-line block ×12, first 2 shown]
	ds_write_b128 v119, v[32:35]
	ds_write_b128 v119, v[16:19] offset:7680
	ds_write_b128 v119, v[24:27] offset:15360
	ds_write_b128 v88, v[20:23]
	ds_write_b128 v88, v[40:43] offset:7680
	ds_write_b128 v88, v[44:47] offset:15360
	;; [unrolled: 1-line block ×11, first 2 shown]
	s_and_saveexec_b32 s1, s0
	s_cbranch_execz .LBB0_23
; %bb.22:
	v_subrev_nc_u32_e32 v12, 30, v78
	v_cndmask_b32_e64 v12, v12, v84, s0
	v_lshlrev_b32_e32 v73, 1, v12
	v_lshlrev_b64 v[12:13], 4, v[73:74]
	v_add_co_u32 v14, s0, s12, v12
	v_add_co_ci_u32_e64 v15, s0, s13, v13, s0
	v_add_co_u32 v12, s0, 0x1800, v14
	v_add_co_ci_u32_e64 v13, s0, 0, v15, s0
	;; [unrolled: 2-line block ×3, first 2 shown]
	s_clause 0x1
	global_load_dwordx4 v[12:15], v[12:13], off offset:1376
	global_load_dwordx4 v[16:19], v[16:17], off offset:16
	s_waitcnt vmcnt(1)
	v_mul_f64 v[20:21], v[4:5], v[14:15]
	s_waitcnt vmcnt(0)
	v_mul_f64 v[22:23], v[8:9], v[18:19]
	v_mul_f64 v[14:15], v[6:7], v[14:15]
	;; [unrolled: 1-line block ×3, first 2 shown]
	v_fma_f64 v[6:7], v[6:7], v[12:13], v[20:21]
	v_fma_f64 v[10:11], v[10:11], v[16:17], v[22:23]
	v_fma_f64 v[4:5], v[4:5], v[12:13], -v[14:15]
	v_fma_f64 v[8:9], v[8:9], v[16:17], -v[18:19]
	v_add_f64 v[18:19], v[2:3], v[6:7]
	v_add_f64 v[12:13], v[6:7], v[10:11]
	v_add_f64 v[20:21], v[6:7], -v[10:11]
	v_add_f64 v[14:15], v[4:5], v[8:9]
	v_add_f64 v[16:17], v[4:5], -v[8:9]
	v_add_f64 v[4:5], v[0:1], v[4:5]
	v_fma_f64 v[12:13], v[12:13], -0.5, v[2:3]
	v_add_f64 v[2:3], v[18:19], v[10:11]
	v_fma_f64 v[14:15], v[14:15], -0.5, v[0:1]
	v_add_f64 v[0:1], v[4:5], v[8:9]
	v_fma_f64 v[10:11], v[16:17], s[6:7], v[12:13]
	v_fma_f64 v[6:7], v[16:17], s[4:5], v[12:13]
	;; [unrolled: 1-line block ×4, first 2 shown]
	ds_write_b128 v119, v[0:3] offset:7200
	ds_write_b128 v119, v[8:11] offset:14880
	;; [unrolled: 1-line block ×3, first 2 shown]
.LBB0_23:
	s_or_b32 exec_lo, exec_lo, s1
	s_waitcnt lgkmcnt(0)
	s_barrier
	buffer_gl0_inv
	ds_read_b128 v[4:7], v119
	v_lshlrev_b32_e32 v0, 4, v78
	s_add_u32 s1, s12, 0x5960
	s_addc_u32 s4, s13, 0
	s_mov_b32 s5, exec_lo
                                        ; implicit-def: $vgpr8_vgpr9
                                        ; implicit-def: $vgpr10_vgpr11
	v_sub_nc_u32_e32 v12, 0, v0
                                        ; implicit-def: $vgpr0_vgpr1
	v_cmpx_ne_u32_e32 0, v78
	s_xor_b32 s5, exec_lo, s5
	s_cbranch_execz .LBB0_25
; %bb.24:
	v_mov_b32_e32 v79, 0
	v_lshlrev_b64 v[0:1], 4, v[78:79]
	v_add_co_u32 v0, s0, s1, v0
	v_add_co_ci_u32_e64 v1, s0, s4, v1, s0
	global_load_dwordx4 v[13:16], v[0:1], off
	ds_read_b128 v[0:3], v12 offset:23040
	s_waitcnt lgkmcnt(0)
	v_add_f64 v[8:9], v[4:5], -v[0:1]
	v_add_f64 v[10:11], v[6:7], v[2:3]
	v_add_f64 v[2:3], v[6:7], -v[2:3]
	v_add_f64 v[0:1], v[4:5], v[0:1]
	v_mul_f64 v[6:7], v[8:9], 0.5
	v_mul_f64 v[4:5], v[10:11], 0.5
	v_mul_f64 v[2:3], v[2:3], 0.5
	s_waitcnt vmcnt(0)
	v_mul_f64 v[8:9], v[6:7], v[15:16]
	v_fma_f64 v[10:11], v[4:5], v[15:16], v[2:3]
	v_fma_f64 v[2:3], v[4:5], v[15:16], -v[2:3]
	v_fma_f64 v[17:18], v[0:1], 0.5, v[8:9]
	v_fma_f64 v[0:1], v[0:1], 0.5, -v[8:9]
	v_fma_f64 v[10:11], -v[13:14], v[6:7], v[10:11]
	v_fma_f64 v[2:3], -v[13:14], v[6:7], v[2:3]
	v_fma_f64 v[8:9], v[4:5], v[13:14], v[17:18]
	v_fma_f64 v[0:1], -v[4:5], v[13:14], v[0:1]
                                        ; implicit-def: $vgpr4_vgpr5
.LBB0_25:
	s_andn2_saveexec_b32 s0, s5
	s_cbranch_execz .LBB0_27
; %bb.26:
	v_mov_b32_e32 v15, 0
	s_waitcnt lgkmcnt(0)
	v_add_f64 v[8:9], v[4:5], v[6:7]
	v_add_f64 v[0:1], v[4:5], -v[6:7]
	v_mov_b32_e32 v10, 0
	v_mov_b32_e32 v11, 0
	ds_read_b64 v[13:14], v15 offset:11528
	v_mov_b32_e32 v2, v10
	v_mov_b32_e32 v3, v11
	s_waitcnt lgkmcnt(0)
	v_xor_b32_e32 v14, 0x80000000, v14
	ds_write_b64 v15, v[13:14] offset:11528
.LBB0_27:
	s_or_b32 exec_lo, exec_lo, s0
	v_mov_b32_e32 v83, 0
	ds_write2_b64 v119, v[8:9], v[10:11] offset1:1
	ds_write_b128 v12, v[0:3] offset:23040
	s_waitcnt lgkmcnt(2)
	v_lshlrev_b64 v[4:5], 4, v[82:83]
	v_mov_b32_e32 v73, v83
	v_mov_b32_e32 v87, v83
	v_add_nc_u32_e32 v82, 0x21c, v78
	v_lshlrev_b64 v[13:14], 4, v[72:73]
	v_add_co_u32 v4, s0, s1, v4
	v_add_co_ci_u32_e64 v5, s0, s4, v5, s0
	v_lshlrev_b64 v[17:18], 4, v[86:87]
	v_add_co_u32 v13, s0, s1, v13
	global_load_dwordx4 v[4:7], v[4:5], off
	v_add_co_ci_u32_e64 v14, s0, s4, v14, s0
	v_add_co_u32 v17, s0, s1, v17
	v_add_co_ci_u32_e64 v18, s0, s4, v18, s0
	global_load_dwordx4 v[13:16], v[13:14], off
	ds_read_b128 v[0:3], v88
	ds_read_b128 v[8:11], v12 offset:21600
	v_mov_b32_e32 v86, v83
	global_load_dwordx4 v[17:20], v[17:18], off
	s_waitcnt lgkmcnt(0)
	v_add_f64 v[21:22], v[0:1], -v[8:9]
	v_add_f64 v[23:24], v[2:3], v[10:11]
	v_add_f64 v[2:3], v[2:3], -v[10:11]
	v_add_f64 v[0:1], v[0:1], v[8:9]
	v_mul_f64 v[10:11], v[21:22], 0.5
	v_mul_f64 v[21:22], v[23:24], 0.5
	;; [unrolled: 1-line block ×3, first 2 shown]
	s_waitcnt vmcnt(2)
	v_mul_f64 v[8:9], v[10:11], v[6:7]
	v_fma_f64 v[23:24], v[21:22], v[6:7], v[2:3]
	v_fma_f64 v[2:3], v[21:22], v[6:7], -v[2:3]
	v_fma_f64 v[6:7], v[0:1], 0.5, v[8:9]
	v_fma_f64 v[0:1], v[0:1], 0.5, -v[8:9]
	v_fma_f64 v[8:9], -v[4:5], v[10:11], v[23:24]
	v_fma_f64 v[2:3], -v[4:5], v[10:11], v[2:3]
	v_lshlrev_b64 v[10:11], 4, v[85:86]
	v_mov_b32_e32 v85, v83
	v_fma_f64 v[6:7], v[21:22], v[4:5], v[6:7]
	v_fma_f64 v[0:1], -v[21:22], v[4:5], v[0:1]
	ds_write2_b64 v88, v[6:7], v[8:9] offset1:1
	ds_write_b128 v12, v[0:3] offset:21600
	v_add_co_u32 v8, s0, s1, v10
	v_add_co_ci_u32_e64 v9, s0, s4, v11, s0
	ds_read_b128 v[0:3], v89 offset:2880
	ds_read_b128 v[4:7], v12 offset:20160
	global_load_dwordx4 v[8:11], v[8:9], off
	s_waitcnt lgkmcnt(0)
	v_add_f64 v[21:22], v[0:1], -v[4:5]
	v_add_f64 v[23:24], v[2:3], v[6:7]
	v_add_f64 v[2:3], v[2:3], -v[6:7]
	v_add_f64 v[0:1], v[0:1], v[4:5]
	v_mul_f64 v[6:7], v[21:22], 0.5
	v_mul_f64 v[21:22], v[23:24], 0.5
	;; [unrolled: 1-line block ×3, first 2 shown]
	s_waitcnt vmcnt(2)
	v_mul_f64 v[4:5], v[6:7], v[15:16]
	v_fma_f64 v[23:24], v[21:22], v[15:16], v[2:3]
	v_fma_f64 v[2:3], v[21:22], v[15:16], -v[2:3]
	v_fma_f64 v[15:16], v[0:1], 0.5, v[4:5]
	v_fma_f64 v[0:1], v[0:1], 0.5, -v[4:5]
	v_fma_f64 v[4:5], -v[13:14], v[6:7], v[23:24]
	v_fma_f64 v[2:3], -v[13:14], v[6:7], v[2:3]
	v_fma_f64 v[6:7], v[21:22], v[13:14], v[15:16]
	v_fma_f64 v[0:1], -v[21:22], v[13:14], v[0:1]
	v_lshlrev_b64 v[13:14], 4, v[84:85]
	ds_write_b64 v89, v[4:5] offset:2888
	ds_write_b64 v12, v[2:3] offset:20168
	;; [unrolled: 1-line block ×4, first 2 shown]
	v_add_co_u32 v13, s0, s1, v13
	v_add_co_ci_u32_e64 v14, s0, s4, v14, s0
	ds_read_b128 v[0:3], v89 offset:4320
	ds_read_b128 v[4:7], v12 offset:18720
	global_load_dwordx4 v[13:16], v[13:14], off
	s_waitcnt lgkmcnt(0)
	v_add_f64 v[21:22], v[0:1], -v[4:5]
	v_add_f64 v[23:24], v[2:3], v[6:7]
	v_add_f64 v[2:3], v[2:3], -v[6:7]
	v_add_f64 v[0:1], v[0:1], v[4:5]
	v_mul_f64 v[6:7], v[21:22], 0.5
	v_mul_f64 v[21:22], v[23:24], 0.5
	;; [unrolled: 1-line block ×3, first 2 shown]
	s_waitcnt vmcnt(2)
	v_mul_f64 v[4:5], v[6:7], v[19:20]
	v_fma_f64 v[23:24], v[21:22], v[19:20], v[2:3]
	v_fma_f64 v[2:3], v[21:22], v[19:20], -v[2:3]
	v_fma_f64 v[19:20], v[0:1], 0.5, v[4:5]
	v_fma_f64 v[0:1], v[0:1], 0.5, -v[4:5]
	v_fma_f64 v[4:5], -v[17:18], v[6:7], v[23:24]
	v_fma_f64 v[2:3], -v[17:18], v[6:7], v[2:3]
	v_fma_f64 v[6:7], v[21:22], v[17:18], v[19:20]
	v_fma_f64 v[0:1], -v[21:22], v[17:18], v[0:1]
	v_lshlrev_b64 v[17:18], 4, v[82:83]
	v_add_nc_u32_e32 v82, 0x276, v78
	ds_write_b64 v89, v[4:5] offset:4328
	ds_write_b64 v12, v[2:3] offset:18728
	;; [unrolled: 1-line block ×4, first 2 shown]
	v_add_co_u32 v17, s0, s1, v17
	v_add_co_ci_u32_e64 v18, s0, s4, v18, s0
	ds_read_b128 v[0:3], v89 offset:5760
	ds_read_b128 v[4:7], v12 offset:17280
	global_load_dwordx4 v[17:20], v[17:18], off
	s_waitcnt lgkmcnt(0)
	v_add_f64 v[21:22], v[0:1], -v[4:5]
	v_add_f64 v[23:24], v[2:3], v[6:7]
	v_add_f64 v[2:3], v[2:3], -v[6:7]
	v_add_f64 v[0:1], v[0:1], v[4:5]
	v_mul_f64 v[6:7], v[21:22], 0.5
	v_mul_f64 v[21:22], v[23:24], 0.5
	;; [unrolled: 1-line block ×3, first 2 shown]
	s_waitcnt vmcnt(2)
	v_mul_f64 v[4:5], v[6:7], v[10:11]
	v_fma_f64 v[23:24], v[21:22], v[10:11], v[2:3]
	v_fma_f64 v[2:3], v[21:22], v[10:11], -v[2:3]
	v_fma_f64 v[10:11], v[0:1], 0.5, v[4:5]
	v_fma_f64 v[0:1], v[0:1], 0.5, -v[4:5]
	v_fma_f64 v[4:5], -v[8:9], v[6:7], v[23:24]
	v_fma_f64 v[2:3], -v[8:9], v[6:7], v[2:3]
	v_fma_f64 v[6:7], v[21:22], v[8:9], v[10:11]
	v_fma_f64 v[0:1], -v[21:22], v[8:9], v[0:1]
	v_lshlrev_b64 v[8:9], 4, v[82:83]
	ds_write_b64 v89, v[4:5] offset:5768
	ds_write_b64 v12, v[2:3] offset:17288
	;; [unrolled: 1-line block ×4, first 2 shown]
	v_add_co_u32 v8, s0, s1, v8
	v_add_co_ci_u32_e64 v9, s0, s4, v9, s0
	ds_read_b128 v[0:3], v89 offset:7200
	ds_read_b128 v[4:7], v12 offset:15840
	global_load_dwordx4 v[8:11], v[8:9], off
	s_waitcnt lgkmcnt(0)
	v_add_f64 v[21:22], v[0:1], -v[4:5]
	v_add_f64 v[23:24], v[2:3], v[6:7]
	v_add_f64 v[2:3], v[2:3], -v[6:7]
	v_add_f64 v[0:1], v[0:1], v[4:5]
	v_mul_f64 v[6:7], v[21:22], 0.5
	v_mul_f64 v[21:22], v[23:24], 0.5
	v_mul_f64 v[2:3], v[2:3], 0.5
	s_waitcnt vmcnt(2)
	v_mul_f64 v[4:5], v[6:7], v[15:16]
	v_fma_f64 v[23:24], v[21:22], v[15:16], v[2:3]
	v_fma_f64 v[2:3], v[21:22], v[15:16], -v[2:3]
	v_fma_f64 v[15:16], v[0:1], 0.5, v[4:5]
	v_fma_f64 v[0:1], v[0:1], 0.5, -v[4:5]
	v_fma_f64 v[4:5], -v[13:14], v[6:7], v[23:24]
	v_fma_f64 v[2:3], -v[13:14], v[6:7], v[2:3]
	v_fma_f64 v[6:7], v[21:22], v[13:14], v[15:16]
	v_fma_f64 v[0:1], -v[21:22], v[13:14], v[0:1]
	ds_write_b64 v89, v[4:5] offset:7208
	ds_write_b64 v12, v[2:3] offset:15848
	;; [unrolled: 1-line block ×4, first 2 shown]
	ds_read_b128 v[0:3], v119 offset:8640
	ds_read_b128 v[4:7], v12 offset:14400
	s_waitcnt lgkmcnt(0)
	v_add_f64 v[13:14], v[0:1], -v[4:5]
	v_add_f64 v[15:16], v[2:3], v[6:7]
	v_add_f64 v[2:3], v[2:3], -v[6:7]
	v_add_f64 v[0:1], v[0:1], v[4:5]
	v_mul_f64 v[6:7], v[13:14], 0.5
	v_mul_f64 v[13:14], v[15:16], 0.5
	;; [unrolled: 1-line block ×3, first 2 shown]
	s_waitcnt vmcnt(1)
	v_mul_f64 v[4:5], v[6:7], v[19:20]
	v_fma_f64 v[15:16], v[13:14], v[19:20], v[2:3]
	v_fma_f64 v[2:3], v[13:14], v[19:20], -v[2:3]
	v_fma_f64 v[19:20], v[0:1], 0.5, v[4:5]
	v_fma_f64 v[0:1], v[0:1], 0.5, -v[4:5]
	v_fma_f64 v[4:5], -v[17:18], v[6:7], v[15:16]
	v_fma_f64 v[2:3], -v[17:18], v[6:7], v[2:3]
	v_fma_f64 v[6:7], v[13:14], v[17:18], v[19:20]
	v_fma_f64 v[0:1], -v[13:14], v[17:18], v[0:1]
	v_add_nc_u32_e32 v17, 0x2000, v119
	ds_write2_b64 v17, v[6:7], v[4:5] offset0:56 offset1:57
	ds_write_b128 v12, v[0:3] offset:14400
	ds_read_b128 v[0:3], v119 offset:10080
	ds_read_b128 v[4:7], v12 offset:12960
	s_waitcnt lgkmcnt(0)
	v_add_f64 v[13:14], v[0:1], -v[4:5]
	v_add_f64 v[15:16], v[2:3], v[6:7]
	v_add_f64 v[2:3], v[2:3], -v[6:7]
	v_add_f64 v[0:1], v[0:1], v[4:5]
	v_mul_f64 v[6:7], v[13:14], 0.5
	v_mul_f64 v[13:14], v[15:16], 0.5
	;; [unrolled: 1-line block ×3, first 2 shown]
	s_waitcnt vmcnt(0)
	v_mul_f64 v[4:5], v[6:7], v[10:11]
	v_fma_f64 v[15:16], v[13:14], v[10:11], v[2:3]
	v_fma_f64 v[2:3], v[13:14], v[10:11], -v[2:3]
	v_fma_f64 v[10:11], v[0:1], 0.5, v[4:5]
	v_fma_f64 v[0:1], v[0:1], 0.5, -v[4:5]
	v_fma_f64 v[4:5], -v[8:9], v[6:7], v[15:16]
	v_fma_f64 v[2:3], -v[8:9], v[6:7], v[2:3]
	v_fma_f64 v[6:7], v[13:14], v[8:9], v[10:11]
	v_fma_f64 v[0:1], -v[13:14], v[8:9], v[0:1]
	ds_write2_b64 v17, v[6:7], v[4:5] offset0:236 offset1:237
	ds_write_b128 v12, v[0:3] offset:12960
	s_waitcnt lgkmcnt(0)
	s_barrier
	buffer_gl0_inv
	s_and_saveexec_b32 s0, vcc_lo
	s_cbranch_execz .LBB0_30
; %bb.28:
	v_mul_lo_u32 v2, s3, v80
	v_mul_lo_u32 v3, s2, v81
	v_mad_u64_u32 v[0:1], null, s2, v80, 0
	v_mov_b32_e32 v79, v83
	v_lshlrev_b64 v[10:11], 4, v[76:77]
	v_lshl_add_u32 v28, v78, 4, 0
	v_add_nc_u32_e32 v82, 0x5a, v78
	v_lshlrev_b64 v[12:13], 4, v[78:79]
	v_add3_u32 v1, v1, v3, v2
	ds_read_b128 v[2:5], v28
	ds_read_b128 v[6:9], v28 offset:1440
	v_lshlrev_b64 v[18:19], 4, v[82:83]
	v_add_nc_u32_e32 v82, 0xb4, v78
	v_lshlrev_b64 v[0:1], 4, v[0:1]
	v_lshlrev_b64 v[20:21], 4, v[82:83]
	v_add_nc_u32_e32 v82, 0x10e, v78
	v_add_co_u32 v0, vcc_lo, s10, v0
	v_add_co_ci_u32_e32 v1, vcc_lo, s11, v1, vcc_lo
	v_lshlrev_b64 v[24:25], 4, v[82:83]
	v_add_co_u32 v0, vcc_lo, v0, v10
	v_add_co_ci_u32_e32 v1, vcc_lo, v1, v11, vcc_lo
	v_add_nc_u32_e32 v82, 0x168, v78
	v_add_co_u32 v22, vcc_lo, v0, v12
	v_add_co_ci_u32_e32 v23, vcc_lo, v1, v13, vcc_lo
	ds_read_b128 v[10:13], v28 offset:2880
	ds_read_b128 v[14:17], v28 offset:4320
	v_add_co_u32 v18, vcc_lo, v0, v18
	v_add_co_ci_u32_e32 v19, vcc_lo, v1, v19, vcc_lo
	v_add_co_u32 v20, vcc_lo, v0, v20
	v_add_co_ci_u32_e32 v21, vcc_lo, v1, v21, vcc_lo
	v_add_co_u32 v24, vcc_lo, v0, v24
	v_lshlrev_b64 v[26:27], 4, v[82:83]
	v_add_nc_u32_e32 v82, 0x1c2, v78
	v_add_co_ci_u32_e32 v25, vcc_lo, v1, v25, vcc_lo
	s_waitcnt lgkmcnt(3)
	global_store_dwordx4 v[22:23], v[2:5], off
	s_waitcnt lgkmcnt(2)
	global_store_dwordx4 v[18:19], v[6:9], off
	s_waitcnt lgkmcnt(1)
	global_store_dwordx4 v[20:21], v[10:13], off
	s_waitcnt lgkmcnt(0)
	global_store_dwordx4 v[24:25], v[14:17], off
	v_lshlrev_b64 v[18:19], 4, v[82:83]
	v_add_nc_u32_e32 v82, 0x21c, v78
	ds_read_b128 v[2:5], v28 offset:5760
	ds_read_b128 v[6:9], v28 offset:7200
	;; [unrolled: 1-line block ×4, first 2 shown]
	v_add_co_u32 v20, vcc_lo, v0, v26
	v_lshlrev_b64 v[22:23], 4, v[82:83]
	v_add_nc_u32_e32 v82, 0x276, v78
	v_add_co_ci_u32_e32 v21, vcc_lo, v1, v27, vcc_lo
	v_add_co_u32 v18, vcc_lo, v0, v18
	v_lshlrev_b64 v[24:25], 4, v[82:83]
	v_add_co_ci_u32_e32 v19, vcc_lo, v1, v19, vcc_lo
	v_add_co_u32 v22, vcc_lo, v0, v22
	v_add_co_ci_u32_e32 v23, vcc_lo, v1, v23, vcc_lo
	v_add_nc_u32_e32 v82, 0x2d0, v78
	v_add_co_u32 v24, vcc_lo, v0, v24
	v_add_co_ci_u32_e32 v25, vcc_lo, v1, v25, vcc_lo
	v_lshlrev_b64 v[26:27], 4, v[82:83]
	v_add_nc_u32_e32 v82, 0x32a, v78
	s_waitcnt lgkmcnt(3)
	global_store_dwordx4 v[20:21], v[2:5], off
	s_waitcnt lgkmcnt(2)
	global_store_dwordx4 v[18:19], v[6:9], off
	;; [unrolled: 2-line block ×4, first 2 shown]
	ds_read_b128 v[2:5], v28 offset:11520
	ds_read_b128 v[6:9], v28 offset:12960
	;; [unrolled: 1-line block ×4, first 2 shown]
	v_lshlrev_b64 v[18:19], 4, v[82:83]
	v_add_nc_u32_e32 v82, 0x384, v78
	v_add_co_u32 v20, vcc_lo, v0, v26
	v_add_co_ci_u32_e32 v21, vcc_lo, v1, v27, vcc_lo
	v_lshlrev_b64 v[22:23], 4, v[82:83]
	v_add_nc_u32_e32 v82, 0x3de, v78
	v_add_co_u32 v18, vcc_lo, v0, v18
	v_add_co_ci_u32_e32 v19, vcc_lo, v1, v19, vcc_lo
	v_lshlrev_b64 v[24:25], 4, v[82:83]
	v_add_nc_u32_e32 v82, 0x438, v78
	v_add_co_u32 v22, vcc_lo, v0, v22
	s_waitcnt lgkmcnt(3)
	global_store_dwordx4 v[20:21], v[2:5], off
	v_add_co_ci_u32_e32 v23, vcc_lo, v1, v23, vcc_lo
	v_lshlrev_b64 v[2:3], 4, v[82:83]
	v_add_nc_u32_e32 v82, 0x492, v78
	v_add_co_u32 v24, vcc_lo, v0, v24
	v_add_co_ci_u32_e32 v25, vcc_lo, v1, v25, vcc_lo
	v_lshlrev_b64 v[20:21], 4, v[82:83]
	v_add_nc_u32_e32 v82, 0x4ec, v78
	s_waitcnt lgkmcnt(2)
	global_store_dwordx4 v[18:19], v[6:9], off
	s_waitcnt lgkmcnt(1)
	global_store_dwordx4 v[22:23], v[10:13], off
	;; [unrolled: 2-line block ×3, first 2 shown]
	v_add_co_u32 v18, vcc_lo, v0, v2
	v_add_co_ci_u32_e32 v19, vcc_lo, v1, v3, vcc_lo
	ds_read_b128 v[2:5], v28 offset:17280
	ds_read_b128 v[6:9], v28 offset:18720
	;; [unrolled: 1-line block ×4, first 2 shown]
	v_lshlrev_b64 v[22:23], 4, v[82:83]
	v_add_nc_u32_e32 v82, 0x546, v78
	v_add_co_u32 v20, vcc_lo, v0, v20
	v_add_co_ci_u32_e32 v21, vcc_lo, v1, v21, vcc_lo
	v_lshlrev_b64 v[24:25], 4, v[82:83]
	v_add_co_u32 v22, vcc_lo, v0, v22
	v_add_co_ci_u32_e32 v23, vcc_lo, v1, v23, vcc_lo
	v_add_co_u32 v24, vcc_lo, v0, v24
	v_add_co_ci_u32_e32 v25, vcc_lo, v1, v25, vcc_lo
	v_cmp_eq_u32_e32 vcc_lo, 0x59, v78
	s_waitcnt lgkmcnt(3)
	global_store_dwordx4 v[18:19], v[2:5], off
	s_waitcnt lgkmcnt(2)
	global_store_dwordx4 v[20:21], v[6:9], off
	s_waitcnt lgkmcnt(1)
	global_store_dwordx4 v[22:23], v[10:13], off
	s_waitcnt lgkmcnt(0)
	global_store_dwordx4 v[24:25], v[14:17], off
	s_and_b32 exec_lo, exec_lo, vcc_lo
	s_cbranch_execz .LBB0_30
; %bb.29:
	v_mov_b32_e32 v2, 0
	v_add_co_u32 v0, vcc_lo, 0x5800, v0
	v_add_co_ci_u32_e32 v1, vcc_lo, 0, v1, vcc_lo
	ds_read_b128 v[2:5], v2 offset:23040
	s_waitcnt lgkmcnt(0)
	global_store_dwordx4 v[0:1], v[2:5], off offset:512
.LBB0_30:
	s_endpgm
	.section	.rodata,"a",@progbits
	.p2align	6, 0x0
	.amdhsa_kernel fft_rtc_fwd_len1440_factors_10_16_3_3_wgs_90_tpt_90_halfLds_dp_op_CI_CI_unitstride_sbrr_R2C_dirReg
		.amdhsa_group_segment_fixed_size 0
		.amdhsa_private_segment_fixed_size 0
		.amdhsa_kernarg_size 104
		.amdhsa_user_sgpr_count 6
		.amdhsa_user_sgpr_private_segment_buffer 1
		.amdhsa_user_sgpr_dispatch_ptr 0
		.amdhsa_user_sgpr_queue_ptr 0
		.amdhsa_user_sgpr_kernarg_segment_ptr 1
		.amdhsa_user_sgpr_dispatch_id 0
		.amdhsa_user_sgpr_flat_scratch_init 0
		.amdhsa_user_sgpr_private_segment_size 0
		.amdhsa_wavefront_size32 1
		.amdhsa_uses_dynamic_stack 0
		.amdhsa_system_sgpr_private_segment_wavefront_offset 0
		.amdhsa_system_sgpr_workgroup_id_x 1
		.amdhsa_system_sgpr_workgroup_id_y 0
		.amdhsa_system_sgpr_workgroup_id_z 0
		.amdhsa_system_sgpr_workgroup_info 0
		.amdhsa_system_vgpr_workitem_id 0
		.amdhsa_next_free_vgpr 144
		.amdhsa_next_free_sgpr 27
		.amdhsa_reserve_vcc 1
		.amdhsa_reserve_flat_scratch 0
		.amdhsa_float_round_mode_32 0
		.amdhsa_float_round_mode_16_64 0
		.amdhsa_float_denorm_mode_32 3
		.amdhsa_float_denorm_mode_16_64 3
		.amdhsa_dx10_clamp 1
		.amdhsa_ieee_mode 1
		.amdhsa_fp16_overflow 0
		.amdhsa_workgroup_processor_mode 1
		.amdhsa_memory_ordered 1
		.amdhsa_forward_progress 0
		.amdhsa_shared_vgpr_count 0
		.amdhsa_exception_fp_ieee_invalid_op 0
		.amdhsa_exception_fp_denorm_src 0
		.amdhsa_exception_fp_ieee_div_zero 0
		.amdhsa_exception_fp_ieee_overflow 0
		.amdhsa_exception_fp_ieee_underflow 0
		.amdhsa_exception_fp_ieee_inexact 0
		.amdhsa_exception_int_div_zero 0
	.end_amdhsa_kernel
	.text
.Lfunc_end0:
	.size	fft_rtc_fwd_len1440_factors_10_16_3_3_wgs_90_tpt_90_halfLds_dp_op_CI_CI_unitstride_sbrr_R2C_dirReg, .Lfunc_end0-fft_rtc_fwd_len1440_factors_10_16_3_3_wgs_90_tpt_90_halfLds_dp_op_CI_CI_unitstride_sbrr_R2C_dirReg
                                        ; -- End function
	.section	.AMDGPU.csdata,"",@progbits
; Kernel info:
; codeLenInByte = 14196
; NumSgprs: 29
; NumVgprs: 144
; ScratchSize: 0
; MemoryBound: 0
; FloatMode: 240
; IeeeMode: 1
; LDSByteSize: 0 bytes/workgroup (compile time only)
; SGPRBlocks: 3
; VGPRBlocks: 17
; NumSGPRsForWavesPerEU: 29
; NumVGPRsForWavesPerEU: 144
; Occupancy: 7
; WaveLimiterHint : 1
; COMPUTE_PGM_RSRC2:SCRATCH_EN: 0
; COMPUTE_PGM_RSRC2:USER_SGPR: 6
; COMPUTE_PGM_RSRC2:TRAP_HANDLER: 0
; COMPUTE_PGM_RSRC2:TGID_X_EN: 1
; COMPUTE_PGM_RSRC2:TGID_Y_EN: 0
; COMPUTE_PGM_RSRC2:TGID_Z_EN: 0
; COMPUTE_PGM_RSRC2:TIDIG_COMP_CNT: 0
	.text
	.p2alignl 6, 3214868480
	.fill 48, 4, 3214868480
	.type	__hip_cuid_c80101e1b6afdec4,@object ; @__hip_cuid_c80101e1b6afdec4
	.section	.bss,"aw",@nobits
	.globl	__hip_cuid_c80101e1b6afdec4
__hip_cuid_c80101e1b6afdec4:
	.byte	0                               ; 0x0
	.size	__hip_cuid_c80101e1b6afdec4, 1

	.ident	"AMD clang version 19.0.0git (https://github.com/RadeonOpenCompute/llvm-project roc-6.4.0 25133 c7fe45cf4b819c5991fe208aaa96edf142730f1d)"
	.section	".note.GNU-stack","",@progbits
	.addrsig
	.addrsig_sym __hip_cuid_c80101e1b6afdec4
	.amdgpu_metadata
---
amdhsa.kernels:
  - .args:
      - .actual_access:  read_only
        .address_space:  global
        .offset:         0
        .size:           8
        .value_kind:     global_buffer
      - .offset:         8
        .size:           8
        .value_kind:     by_value
      - .actual_access:  read_only
        .address_space:  global
        .offset:         16
        .size:           8
        .value_kind:     global_buffer
      - .actual_access:  read_only
        .address_space:  global
        .offset:         24
        .size:           8
        .value_kind:     global_buffer
      - .actual_access:  read_only
        .address_space:  global
        .offset:         32
        .size:           8
        .value_kind:     global_buffer
      - .offset:         40
        .size:           8
        .value_kind:     by_value
      - .actual_access:  read_only
        .address_space:  global
        .offset:         48
        .size:           8
        .value_kind:     global_buffer
      - .actual_access:  read_only
        .address_space:  global
        .offset:         56
        .size:           8
        .value_kind:     global_buffer
      - .offset:         64
        .size:           4
        .value_kind:     by_value
      - .actual_access:  read_only
        .address_space:  global
        .offset:         72
        .size:           8
        .value_kind:     global_buffer
      - .actual_access:  read_only
        .address_space:  global
        .offset:         80
        .size:           8
        .value_kind:     global_buffer
      - .actual_access:  read_only
        .address_space:  global
        .offset:         88
        .size:           8
        .value_kind:     global_buffer
      - .actual_access:  write_only
        .address_space:  global
        .offset:         96
        .size:           8
        .value_kind:     global_buffer
    .group_segment_fixed_size: 0
    .kernarg_segment_align: 8
    .kernarg_segment_size: 104
    .language:       OpenCL C
    .language_version:
      - 2
      - 0
    .max_flat_workgroup_size: 90
    .name:           fft_rtc_fwd_len1440_factors_10_16_3_3_wgs_90_tpt_90_halfLds_dp_op_CI_CI_unitstride_sbrr_R2C_dirReg
    .private_segment_fixed_size: 0
    .sgpr_count:     29
    .sgpr_spill_count: 0
    .symbol:         fft_rtc_fwd_len1440_factors_10_16_3_3_wgs_90_tpt_90_halfLds_dp_op_CI_CI_unitstride_sbrr_R2C_dirReg.kd
    .uniform_work_group_size: 1
    .uses_dynamic_stack: false
    .vgpr_count:     144
    .vgpr_spill_count: 0
    .wavefront_size: 32
    .workgroup_processor_mode: 1
amdhsa.target:   amdgcn-amd-amdhsa--gfx1030
amdhsa.version:
  - 1
  - 2
...

	.end_amdgpu_metadata
